;; amdgpu-corpus repo=ROCm/rocFFT kind=compiled arch=gfx1201 opt=O3
	.text
	.amdgcn_target "amdgcn-amd-amdhsa--gfx1201"
	.amdhsa_code_object_version 6
	.protected	fft_rtc_fwd_len17_factors_17_wgs_120_tpt_1_sp_op_CI_CI_sbrc_xy_z_diag_dirReg ; -- Begin function fft_rtc_fwd_len17_factors_17_wgs_120_tpt_1_sp_op_CI_CI_sbrc_xy_z_diag_dirReg
	.globl	fft_rtc_fwd_len17_factors_17_wgs_120_tpt_1_sp_op_CI_CI_sbrc_xy_z_diag_dirReg
	.p2align	8
	.type	fft_rtc_fwd_len17_factors_17_wgs_120_tpt_1_sp_op_CI_CI_sbrc_xy_z_diag_dirReg,@function
fft_rtc_fwd_len17_factors_17_wgs_120_tpt_1_sp_op_CI_CI_sbrc_xy_z_diag_dirReg: ; @fft_rtc_fwd_len17_factors_17_wgs_120_tpt_1_sp_op_CI_CI_sbrc_xy_z_diag_dirReg
; %bb.0:
	s_load_b256 s[4:11], s[0:1], 0x8
	v_add_nc_u16 v7, v0, 0x78
	v_add_nc_u16 v8, v0, 0xf0
	;; [unrolled: 1-line block ×4, first 2 shown]
	v_mov_b32_e32 v20, 0
	v_and_b32_e32 v2, 0xffff, v7
	v_and_b32_e32 v3, 0xffff, v8
	v_mul_u32_u24_e32 v1, 0xf10, v0
	v_and_b32_e32 v4, 0xffff, v11
	v_and_b32_e32 v5, 0xffff, v12
	v_mul_u32_u24_e32 v2, 0xf10, v2
	v_mul_u32_u24_e32 v3, 0xf10, v3
	v_lshrrev_b32_e32 v1, 16, v1
	v_mul_u32_u24_e32 v4, 0xf10, v4
	v_mul_u32_u24_e32 v9, 0xf10, v5
	v_lshrrev_b32_e32 v5, 16, v2
	v_lshrrev_b32_e32 v2, 16, v3
	v_mul_lo_u16 v6, v1, 17
	v_lshrrev_b32_e32 v3, 16, v4
	s_wait_kmcnt 0x0
	s_load_b128 s[16:19], s[6:7], 0x8
	s_load_b128 s[0:3], s[0:1], 0x58
	;; [unrolled: 1-line block ×3, first 2 shown]
	v_lshrrev_b32_e32 v4, 16, v9
	v_mul_lo_u16 v9, v5, 17
	v_mul_lo_u16 v14, v2, 17
	v_sub_nc_u16 v6, v0, v6
	v_mul_lo_u16 v15, v3, 17
	v_mul_lo_u16 v16, v4, 17
	v_sub_nc_u16 v10, v7, v9
	v_sub_nc_u16 v9, v8, v14
	v_and_b32_e32 v23, 0xffff, v6
	v_sub_nc_u16 v7, v11, v15
	v_sub_nc_u16 v8, v12, v16
	v_and_b32_e32 v25, 0xffff, v10
	v_and_b32_e32 v26, 0xffff, v9
	s_mov_b32 s21, 0
	v_and_b32_e32 v27, 0xffff, v7
	s_wait_kmcnt 0x0
	s_mov_b32 s17, s21
	v_add_nc_u16 v29, v0, 0x258
	s_add_co_i32 s6, s18, -1
	v_add_nc_u16 v32, v0, 0x348
	s_mul_hi_u32 s6, s6, 0x88888889
	v_mad_co_u64_u32 v[11:12], null, s12, v23, 0
	s_lshr_b32 s6, s6, 6
	v_mad_co_u64_u32 v[15:16], null, s12, v26, 0
	s_add_co_i32 s6, s6, 1
	v_mad_co_u64_u32 v[17:18], null, s12, v27, 0
	s_mul_i32 s7, s6, s16
	s_load_b32 s6, s[8:9], 0x10
	s_cvt_f32_u32 s15, s7
	s_sub_co_i32 s16, 0, s7
	v_and_b32_e32 v30, 0xffff, v29
	v_add_nc_u16 v35, v0, 0x3c0
	v_rcp_iflag_f32_e32 v13, s15
	v_add_nc_u16 v36, v0, 0x438
	v_add_nc_u16 v43, v0, 0x5a0
	v_or_b32_e32 v48, 0x780, v0
	v_mul_lo_u16 v6, 0x78, v6
	s_delay_alu instid0(VALU_DEP_2) | instskip(NEXT) | instid1(TRANS32_DEP_1)
	v_and_b32_e32 v51, 0xffff, v48
	v_readfirstlane_b32 s15, v13
	v_mad_co_u64_u32 v[13:14], null, s12, v25, 0
	s_delay_alu instid0(VALU_DEP_2) | instskip(SKIP_1) | instid1(SALU_CYCLE_2)
	s_mul_f32 s15, s15, 0x4f7ffffe
	s_wait_alu 0xfffe
	s_cvt_u32_f32 s15, s15
	s_delay_alu instid0(VALU_DEP_1) | instskip(NEXT) | instid1(VALU_DEP_2)
	v_mad_co_u64_u32 v[23:24], null, s13, v23, v[12:13]
	v_mad_co_u64_u32 v[24:25], null, s13, v25, v[14:15]
	s_wait_alu 0xfffe
	s_mul_i32 s16, s16, s15
	v_mad_co_u64_u32 v[25:26], null, s13, v26, v[16:17]
	s_mul_hi_u32 s16, s15, s16
	s_delay_alu instid0(VALU_DEP_3) | instskip(SKIP_1) | instid1(VALU_DEP_3)
	v_mov_b32_e32 v12, v23
	s_add_co_i32 s15, s15, s16
	v_mov_b32_e32 v14, v24
	s_wait_alu 0xfffe
	s_mul_hi_u32 s15, ttmp9, s15
	s_wait_alu 0xfffe
	s_mul_i32 s16, s15, s7
	s_add_co_i32 s18, s15, 1
	s_sub_co_i32 s16, ttmp9, s16
	v_mov_b32_e32 v16, v25
	s_sub_co_i32 s19, s16, s7
	s_cmp_ge_u32 s16, s7
	v_lshlrev_b64_e32 v[11:12], 3, v[11:12]
	s_cselect_b32 s15, s18, s15
	s_cselect_b32 s16, s19, s16
	s_wait_alu 0xfffe
	s_add_co_i32 s18, s15, 1
	s_cmp_ge_u32 s16, s7
	v_lshlrev_b64_e32 v[13:14], 3, v[13:14]
	s_cselect_b32 s16, s18, s15
	s_lshl_b64 s[18:19], s[4:5], 3
	s_mul_i32 s7, s16, s7
	s_add_nc_u64 s[4:5], s[8:9], s[18:19]
	s_sub_co_i32 s7, ttmp9, s7
	s_load_b64 s[4:5], s[4:5], 0x0
	s_wait_kmcnt 0x0
	v_mul_lo_u32 v19, s6, v1
	s_mul_hi_u32 s8, s7, 0xf0f0f0f1
	v_lshlrev_b64_e32 v[15:16], 3, v[15:16]
	s_lshr_b32 s8, s8, 4
	v_or_b32_e32 v1, v6, v1
	s_mul_i32 s8, s8, 17
	s_delay_alu instid0(SALU_CYCLE_1) | instskip(NEXT) | instid1(VALU_DEP_3)
	s_sub_co_i32 s15, s7, s8
	v_lshlrev_b64_e32 v[21:22], 3, v[19:20]
	v_mul_lo_u32 v19, s6, v5
	s_wait_alu 0xfffe
	s_mul_i32 s20, s15, s14
	v_mad_u16 v5, 0x78, v10, v5
	s_lshl_b64 s[8:9], s[20:21], 3
	v_and_b32_e32 v1, 0xffff, v1
	s_delay_alu instid0(VALU_DEP_2) | instskip(NEXT) | instid1(VALU_DEP_4)
	v_and_b32_e32 v5, 0xffff, v5
	v_mad_co_u64_u32 v[26:27], null, s13, v27, v[18:19]
	s_mul_u64 s[4:5], s[4:5], s[16:17]
	v_lshlrev_b64_e32 v[27:28], 3, v[19:20]
	s_lshl_b64 s[4:5], s[4:5], 3
	v_mul_lo_u32 v19, s6, v2
	s_add_nc_u64 s[0:1], s[0:1], s[4:5]
	v_lshl_add_u32 v1, v1, 3, 0
	s_add_nc_u64 s[0:1], s[0:1], s[8:9]
	v_mov_b32_e32 v18, v26
	v_add_co_u32 v11, vcc_lo, s0, v11
	v_add_co_ci_u32_e32 v12, vcc_lo, s1, v12, vcc_lo
	v_lshlrev_b64_e32 v[23:24], 3, v[19:20]
	v_add_co_u32 v19, vcc_lo, s0, v13
	s_wait_alu 0xfffd
	v_add_co_ci_u32_e32 v25, vcc_lo, s1, v14, vcc_lo
	v_add_co_u32 v26, vcc_lo, s0, v15
	s_wait_alu 0xfffd
	v_add_co_ci_u32_e32 v31, vcc_lo, s1, v16, vcc_lo
	v_add_co_u32 v13, vcc_lo, v11, v21
	v_mul_u32_u24_e32 v11, 0xf10, v30
	s_wait_alu 0xfffd
	v_add_co_ci_u32_e32 v14, vcc_lo, v12, v22, vcc_lo
	v_add_co_u32 v15, vcc_lo, v19, v27
	v_mul_lo_u32 v19, s6, v3
	v_lshrrev_b32_e32 v11, 16, v11
	v_and_b32_e32 v27, 0xffff, v8
	v_lshlrev_b64_e32 v[17:18], 3, v[17:18]
	s_wait_alu 0xfffd
	v_add_co_ci_u32_e32 v16, vcc_lo, v25, v28, vcc_lo
	v_mul_lo_u16 v12, v11, 17
	v_mad_co_u64_u32 v[21:22], null, s12, v27, 0
	v_add_co_u32 v23, vcc_lo, v26, v23
	s_wait_alu 0xfffd
	v_add_co_ci_u32_e32 v24, vcc_lo, v31, v24, vcc_lo
	v_lshlrev_b64_e32 v[25:26], 3, v[19:20]
	v_add_co_u32 v19, vcc_lo, s0, v17
	v_sub_nc_u16 v12, v29, v12
	s_wait_alu 0xfffd
	v_add_co_ci_u32_e32 v28, vcc_lo, s1, v18, vcc_lo
	v_mov_b32_e32 v17, v22
	v_add_co_u32 v18, vcc_lo, v19, v25
	v_add_nc_u16 v30, v0, 0x2d0
	v_and_b32_e32 v31, 0xffff, v12
	s_wait_alu 0xfffd
	v_add_co_ci_u32_e32 v19, vcc_lo, v28, v26, vcc_lo
	v_mad_co_u64_u32 v[25:26], null, s13, v27, v[17:18]
	v_and_b32_e32 v22, 0xffff, v30
	v_mad_co_u64_u32 v[26:27], null, s12, v31, 0
	s_clause 0x3
	global_load_b64 v[13:14], v[13:14], off
	global_load_b64 v[15:16], v[15:16], off
	;; [unrolled: 1-line block ×4, first 2 shown]
	v_mul_lo_u32 v19, s6, v4
	v_mul_u32_u24_e32 v22, 0xf10, v22
	v_mad_u16 v2, 0x78, v9, v2
	v_lshl_add_u32 v5, v5, 3, 0
	v_mov_b32_e32 v23, v27
	v_and_b32_e32 v27, 0xffff, v32
	v_lshrrev_b32_e32 v57, 16, v22
	v_mov_b32_e32 v22, v25
	s_delay_alu instid0(VALU_DEP_4) | instskip(NEXT) | instid1(VALU_DEP_4)
	v_mad_co_u64_u32 v[23:24], null, s13, v31, v[23:24]
	v_mul_u32_u24_e32 v24, 0xf10, v27
	s_delay_alu instid0(VALU_DEP_4) | instskip(NEXT) | instid1(VALU_DEP_4)
	v_mul_lo_u16 v25, v57, 17
	v_lshlrev_b64_e32 v[21:22], 3, v[21:22]
	s_delay_alu instid0(VALU_DEP_3) | instskip(NEXT) | instid1(VALU_DEP_3)
	v_lshrrev_b32_e32 v59, 16, v24
	v_sub_nc_u16 v58, v30, v25
	v_mov_b32_e32 v27, v23
	s_delay_alu instid0(VALU_DEP_4) | instskip(NEXT) | instid1(VALU_DEP_4)
	v_add_co_u32 v25, vcc_lo, s0, v21
	v_mul_lo_u16 v31, v59, 17
	s_delay_alu instid0(VALU_DEP_4)
	v_and_b32_e32 v33, 0xffff, v58
	s_wait_alu 0xfffd
	v_add_co_ci_u32_e32 v30, vcc_lo, s1, v22, vcc_lo
	v_lshlrev_b64_e32 v[21:22], 3, v[19:20]
	v_mul_lo_u32 v19, s6, v11
	v_sub_nc_u16 v60, v32, v31
	v_mad_co_u64_u32 v[23:24], null, s12, v33, 0
	s_delay_alu instid0(VALU_DEP_4) | instskip(SKIP_1) | instid1(VALU_DEP_4)
	v_add_co_u32 v21, vcc_lo, v25, v21
	v_lshlrev_b64_e32 v[25:26], 3, v[26:27]
	v_and_b32_e32 v27, 0xffff, v60
	s_wait_alu 0xfffd
	v_add_co_ci_u32_e32 v22, vcc_lo, v30, v22, vcc_lo
	v_lshlrev_b64_e32 v[30:31], 3, v[19:20]
	v_and_b32_e32 v19, 0xffff, v35
	v_mad_co_u64_u32 v[32:33], null, s13, v33, v[24:25]
	v_mad_co_u64_u32 v[33:34], null, s12, v27, 0
	s_delay_alu instid0(VALU_DEP_3) | instskip(SKIP_3) | instid1(VALU_DEP_3)
	v_mul_u32_u24_e32 v19, 0xf10, v19
	v_add_co_u32 v25, vcc_lo, s0, v25
	s_wait_alu 0xfffd
	v_add_co_ci_u32_e32 v26, vcc_lo, s1, v26, vcc_lo
	v_lshrrev_b32_e32 v61, 16, v19
	v_mov_b32_e32 v19, v34
	v_add_co_u32 v25, vcc_lo, v25, v30
	v_mov_b32_e32 v24, v32
	s_wait_alu 0xfffd
	v_add_co_ci_u32_e32 v26, vcc_lo, v26, v31, vcc_lo
	v_mad_co_u64_u32 v[30:31], null, s13, v27, v[19:20]
	v_and_b32_e32 v27, 0xffff, v36
	v_mul_lo_u16 v32, v61, 17
	v_lshlrev_b64_e32 v[23:24], 3, v[23:24]
	v_mul_lo_u32 v19, s6, v57
	s_delay_alu instid0(VALU_DEP_4) | instskip(NEXT) | instid1(VALU_DEP_4)
	v_mul_u32_u24_e32 v27, 0xf10, v27
	v_sub_nc_u16 v62, v35, v32
	v_mov_b32_e32 v34, v30
	v_add_co_u32 v35, vcc_lo, s0, v23
	s_delay_alu instid0(VALU_DEP_4)
	v_lshrrev_b32_e32 v63, 16, v27
	s_wait_alu 0xfffd
	v_add_co_ci_u32_e32 v37, vcc_lo, s1, v24, vcc_lo
	v_lshlrev_b64_e32 v[23:24], 3, v[19:20]
	v_and_b32_e32 v38, 0xffff, v62
	v_mul_lo_u32 v19, s6, v59
	v_lshlrev_b64_e32 v[30:31], 3, v[33:34]
	v_mul_lo_u16 v27, v63, 17
	s_delay_alu instid0(VALU_DEP_4)
	v_mad_co_u64_u32 v[32:33], null, s12, v38, 0
	v_add_co_u32 v23, vcc_lo, v35, v23
	s_wait_alu 0xfffd
	v_add_co_ci_u32_e32 v24, vcc_lo, v37, v24, vcc_lo
	v_lshlrev_b64_e32 v[34:35], 3, v[19:20]
	v_sub_nc_u16 v64, v36, v27
	v_add_nc_u16 v27, v0, 0x4b0
	v_add_co_u32 v30, vcc_lo, s0, v30
	s_wait_alu 0xfffd
	v_add_co_ci_u32_e32 v31, vcc_lo, s1, v31, vcc_lo
	s_delay_alu instid0(VALU_DEP_3) | instskip(NEXT) | instid1(VALU_DEP_3)
	v_dual_mov_b32 v19, v33 :: v_dual_and_b32 v36, 0xffff, v27
	v_add_co_u32 v30, vcc_lo, v30, v34
	s_wait_alu 0xfffd
	s_delay_alu instid0(VALU_DEP_3) | instskip(NEXT) | instid1(VALU_DEP_3)
	v_add_co_ci_u32_e32 v31, vcc_lo, v31, v35, vcc_lo
	v_mad_co_u64_u32 v[33:34], null, s13, v38, v[19:20]
	v_mul_u32_u24_e32 v19, 0xf10, v36
	s_clause 0x3
	global_load_b64 v[21:22], v[21:22], off
	global_load_b64 v[25:26], v[25:26], off
	;; [unrolled: 1-line block ×4, first 2 shown]
	v_and_b32_e32 v39, 0xffff, v64
	v_add_nc_u16 v38, v0, 0x528
	v_lshrrev_b32_e32 v65, 16, v19
	v_mul_lo_u32 v19, s6, v61
	s_delay_alu instid0(VALU_DEP_4) | instskip(NEXT) | instid1(VALU_DEP_4)
	v_mad_co_u64_u32 v[34:35], null, s12, v39, 0
	v_and_b32_e32 v40, 0xffff, v38
	v_lshlrev_b64_e32 v[32:33], 3, v[32:33]
	s_delay_alu instid0(VALU_DEP_3) | instskip(SKIP_1) | instid1(VALU_DEP_2)
	v_mov_b32_e32 v23, v35
	v_mul_lo_u16 v35, v65, 17
	v_mad_co_u64_u32 v[23:24], null, s13, v39, v[23:24]
	v_mul_u32_u24_e32 v24, 0xf10, v40
	s_delay_alu instid0(VALU_DEP_3)
	v_sub_nc_u16 v66, v27, v35
	v_add_co_u32 v27, vcc_lo, s0, v32
	s_wait_alu 0xfffd
	v_add_co_ci_u32_e32 v39, vcc_lo, s1, v33, vcc_lo
	v_lshrrev_b32_e32 v67, 16, v24
	v_lshlrev_b64_e32 v[32:33], 3, v[19:20]
	v_mul_lo_u32 v19, s6, v63
	v_dual_mov_b32 v35, v23 :: v_dual_and_b32 v40, 0xffff, v66
	s_delay_alu instid0(VALU_DEP_4) | instskip(NEXT) | instid1(VALU_DEP_4)
	v_mul_lo_u16 v41, v67, 17
	v_add_co_u32 v32, vcc_lo, v27, v32
	s_delay_alu instid0(VALU_DEP_3) | instskip(NEXT) | instid1(VALU_DEP_3)
	v_mad_co_u64_u32 v[23:24], null, s12, v40, 0
	v_sub_nc_u16 v68, v38, v41
	s_wait_alu 0xfffd
	v_add_co_ci_u32_e32 v33, vcc_lo, v39, v33, vcc_lo
	v_lshlrev_b64_e32 v[38:39], 3, v[19:20]
	v_and_b32_e32 v19, 0xffff, v43
	v_and_b32_e32 v44, 0xffff, v68
	v_lshlrev_b64_e32 v[34:35], 3, v[34:35]
	s_delay_alu instid0(VALU_DEP_3) | instskip(NEXT) | instid1(VALU_DEP_2)
	v_mul_u32_u24_e32 v19, 0xf10, v19
	v_add_co_u32 v27, vcc_lo, s0, v34
	s_delay_alu instid0(VALU_DEP_2) | instskip(SKIP_1) | instid1(VALU_DEP_4)
	v_lshrrev_b32_e32 v69, 16, v19
	s_wait_alu 0xfffd
	v_add_co_ci_u32_e32 v35, vcc_lo, s1, v35, vcc_lo
	s_delay_alu instid0(VALU_DEP_3) | instskip(SKIP_2) | instid1(VALU_DEP_3)
	v_add_co_u32 v34, vcc_lo, v27, v38
	v_mul_lo_u32 v19, s6, v65
	s_wait_alu 0xfffd
	v_add_co_ci_u32_e32 v35, vcc_lo, v35, v39, vcc_lo
	s_wait_loadcnt 0x2
	v_mad_co_u64_u32 v[40:41], null, s13, v40, v[24:25]
	v_mad_co_u64_u32 v[41:42], null, s12, v44, 0
	s_delay_alu instid0(VALU_DEP_2) | instskip(SKIP_1) | instid1(VALU_DEP_3)
	v_mov_b32_e32 v24, v40
	v_mul_lo_u16 v40, v69, 17
	v_mov_b32_e32 v27, v42
	s_delay_alu instid0(VALU_DEP_3) | instskip(NEXT) | instid1(VALU_DEP_3)
	v_lshlrev_b64_e32 v[23:24], 3, v[23:24]
	v_sub_nc_u16 v70, v43, v40
	s_delay_alu instid0(VALU_DEP_3) | instskip(SKIP_1) | instid1(VALU_DEP_3)
	v_mad_co_u64_u32 v[38:39], null, s13, v44, v[27:28]
	v_add_nc_u16 v43, v0, 0x618
	v_and_b32_e32 v45, 0xffff, v70
	v_add_co_u32 v27, vcc_lo, s0, v23
	s_delay_alu instid0(VALU_DEP_3) | instskip(SKIP_1) | instid1(VALU_DEP_4)
	v_and_b32_e32 v46, 0xffff, v43
	v_mov_b32_e32 v42, v38
	v_mad_co_u64_u32 v[38:39], null, s12, v45, 0
	s_wait_alu 0xfffd
	v_add_co_ci_u32_e32 v44, vcc_lo, s1, v24, vcc_lo
	v_lshlrev_b64_e32 v[23:24], 3, v[19:20]
	v_mul_lo_u32 v19, s6, v67
	v_lshlrev_b64_e32 v[40:41], 3, v[41:42]
	v_mul_u32_u24_e32 v42, 0xf10, v46
	s_delay_alu instid0(VALU_DEP_4)
	v_add_co_u32 v23, vcc_lo, v27, v23
	v_mov_b32_e32 v27, v39
	s_wait_alu 0xfffd
	v_add_co_ci_u32_e32 v24, vcc_lo, v44, v24, vcc_lo
	v_lshrrev_b32_e32 v71, 16, v42
	v_add_co_u32 v44, vcc_lo, s0, v40
	v_lshlrev_b64_e32 v[39:40], 3, v[19:20]
	s_wait_alu 0xfffd
	v_add_co_ci_u32_e32 v46, vcc_lo, s1, v41, vcc_lo
	v_mad_co_u64_u32 v[41:42], null, s13, v45, v[27:28]
	v_add_nc_u16 v27, v0, 0x690
	v_mul_lo_u16 v19, v71, 17
	v_add_co_u32 v39, vcc_lo, v44, v39
	s_wait_alu 0xfffd
	v_add_co_ci_u32_e32 v40, vcc_lo, v46, v40, vcc_lo
	v_and_b32_e32 v46, 0xffff, v27
	v_sub_nc_u16 v72, v43, v19
	s_clause 0x3
	global_load_b64 v[32:33], v[32:33], off
	global_load_b64 v[34:35], v[34:35], off
	;; [unrolled: 1-line block ×4, first 2 shown]
	v_mov_b32_e32 v39, v41
	v_mul_lo_u32 v19, s6, v69
	v_mul_u32_u24_e32 v41, 0xf10, v46
	v_add_nc_u16 v46, v0, 0x708
	v_and_b32_e32 v40, 0xffff, v72
	v_lshlrev_b64_e32 v[23:24], 3, v[38:39]
	s_delay_alu instid0(VALU_DEP_4) | instskip(NEXT) | instid1(VALU_DEP_4)
	v_lshrrev_b32_e32 v73, 16, v41
	v_and_b32_e32 v41, 0xffff, v46
	s_delay_alu instid0(VALU_DEP_4) | instskip(NEXT) | instid1(VALU_DEP_4)
	v_mad_co_u64_u32 v[38:39], null, s12, v40, 0
	v_add_co_u32 v47, vcc_lo, s0, v23
	s_delay_alu instid0(VALU_DEP_3)
	v_mul_u32_u24_e32 v41, 0xf10, v41
	v_mul_lo_u16 v50, v73, 17
	s_wait_alu 0xfffd
	v_add_co_ci_u32_e32 v49, vcc_lo, s1, v24, vcc_lo
	v_lshlrev_b64_e32 v[23:24], 3, v[19:20]
	v_mov_b32_e32 v19, v39
	v_lshrrev_b32_e32 v75, 16, v41
	v_sub_nc_u16 v74, v27, v50
	v_mul_u32_u24_e32 v27, 0xf10, v51
	s_delay_alu instid0(VALU_DEP_4) | instskip(NEXT) | instid1(VALU_DEP_4)
	v_mad_co_u64_u32 v[39:40], null, s13, v40, v[19:20]
	v_mul_lo_u16 v19, v75, 17
	s_delay_alu instid0(VALU_DEP_4) | instskip(NEXT) | instid1(VALU_DEP_4)
	v_and_b32_e32 v50, 0xffff, v74
	v_lshrrev_b32_e32 v76, 16, v27
	v_add_co_u32 v23, vcc_lo, v47, v23
	s_delay_alu instid0(VALU_DEP_4) | instskip(NEXT) | instid1(VALU_DEP_4)
	v_sub_nc_u16 v77, v46, v19
	v_mad_co_u64_u32 v[40:41], null, s12, v50, 0
	s_delay_alu instid0(VALU_DEP_4)
	v_mul_lo_u16 v27, v76, 17
	s_wait_alu 0xfffd
	v_add_co_ci_u32_e32 v24, vcc_lo, v49, v24, vcc_lo
	v_and_b32_e32 v53, 0xffff, v77
	v_mul_lo_u32 v19, s6, v71
	v_sub_nc_u16 v78, v48, v27
	v_mov_b32_e32 v27, v41
	global_load_b64 v[46:47], v[23:24], off
	v_lshlrev_b64_e32 v[23:24], 3, v[38:39]
	v_mad_co_u64_u32 v[38:39], null, s12, v53, 0
	v_and_b32_e32 v55, 0xffff, v78
	v_mad_co_u64_u32 v[48:49], null, s13, v50, v[27:28]
	s_delay_alu instid0(VALU_DEP_4) | instskip(NEXT) | instid1(VALU_DEP_3)
	v_add_co_u32 v27, vcc_lo, s0, v23
	v_mad_co_u64_u32 v[49:50], null, s12, v55, 0
	v_mov_b32_e32 v23, v39
	s_wait_alu 0xfffd
	v_add_co_ci_u32_e32 v54, vcc_lo, s1, v24, vcc_lo
	v_mov_b32_e32 v41, v48
	v_lshlrev_b64_e32 v[51:52], 3, v[19:20]
	v_mad_co_u64_u32 v[23:24], null, s13, v53, v[23:24]
	v_mul_lo_u32 v19, s6, v73
	v_mov_b32_e32 v24, v50
	v_lshlrev_b64_e32 v[40:41], 3, v[40:41]
	v_add_co_u32 v51, vcc_lo, v27, v51
	s_wait_alu 0xfffd
	v_add_co_ci_u32_e32 v52, vcc_lo, v54, v52, vcc_lo
	v_mad_co_u64_u32 v[55:56], null, s13, v55, v[24:25]
	v_lshlrev_b64_e32 v[53:54], 3, v[19:20]
	v_mul_lo_u32 v19, s6, v75
	v_mov_b32_e32 v39, v23
	v_add_co_u32 v27, vcc_lo, s0, v40
	s_wait_alu 0xfffd
	v_add_co_ci_u32_e32 v40, vcc_lo, s1, v41, vcc_lo
	v_mov_b32_e32 v50, v55
	v_lshlrev_b64_e32 v[23:24], 3, v[38:39]
	v_add_co_u32 v38, vcc_lo, v27, v53
	s_wait_alu 0xfffd
	v_add_co_ci_u32_e32 v39, vcc_lo, v40, v54, vcc_lo
	v_lshlrev_b64_e32 v[40:41], 3, v[19:20]
	v_mul_lo_u32 v19, s6, v76
	v_lshlrev_b64_e32 v[48:49], 3, v[49:50]
	v_add_co_u32 v27, vcc_lo, s0, v23
	s_wait_alu 0xfffd
	v_add_co_ci_u32_e32 v50, vcc_lo, s1, v24, vcc_lo
	s_delay_alu instid0(VALU_DEP_3)
	v_add_co_u32 v48, vcc_lo, s0, v48
	v_lshlrev_b64_e32 v[23:24], 3, v[19:20]
	s_wait_alu 0xfffd
	v_add_co_ci_u32_e32 v49, vcc_lo, s1, v49, vcc_lo
	v_add_co_u32 v40, vcc_lo, v27, v40
	s_wait_alu 0xfffd
	v_add_co_ci_u32_e32 v41, vcc_lo, v50, v41, vcc_lo
	v_add_co_u32 v23, vcc_lo, v48, v23
	s_wait_alu 0xfffd
	v_add_co_ci_u32_e32 v24, vcc_lo, v49, v24, vcc_lo
	s_clause 0x3
	global_load_b64 v[48:49], v[51:52], off
	global_load_b64 v[38:39], v[38:39], off
	;; [unrolled: 1-line block ×4, first 2 shown]
	v_mul_u32_u24_e32 v19, 0x223, v0
	s_add_nc_u64 s[0:1], s[10:11], s[18:19]
	s_clause 0x1
	s_load_b128 s[4:7], s[10:11], 0x0
	s_load_b64 s[8:9], s[0:1], 0x0
	s_wait_kmcnt 0x0
	s_load_b32 s7, s[10:11], 0x10
	v_lshrrev_b32_e32 v23, 16, v19
	ds_store_b64 v1, v[13:14]
	ds_store_b64 v5, v[15:16]
	v_mad_u16 v1, 0x78, v7, v3
	v_mad_u16 v3, 0x78, v12, v11
	s_mov_b32 s1, s21
	v_mul_lo_u16 v6, 0x78, v23
	s_delay_alu instid0(VALU_DEP_3) | instskip(NEXT) | instid1(VALU_DEP_3)
	v_and_b32_e32 v1, 0xffff, v1
	v_and_b32_e32 v3, 0xffff, v3
	s_delay_alu instid0(VALU_DEP_3) | instskip(NEXT) | instid1(VALU_DEP_1)
	v_sub_nc_u16 v0, v0, v6
	v_and_b32_e32 v24, 0xffff, v0
	v_and_b32_e32 v0, 0xffff, v2
	v_mad_u16 v2, 0x78, v8, v4
	v_mad_u16 v4, 0x78, v58, v57
	s_wait_kmcnt 0x0
	s_mul_i32 s0, s15, s7
	v_lshlrev_b32_e32 v5, 3, v24
	v_lshl_add_u32 v0, v0, 3, 0
	v_and_b32_e32 v2, 0xffff, v2
	v_and_b32_e32 v4, 0xffff, v4
	s_mul_u64 s[8:9], s[8:9], s[16:17]
	s_wait_alu 0xfffe
	s_lshl_b64 s[0:1], s[0:1], 3
	ds_store_b64 v0, v[28:29]
	v_lshl_add_u32 v0, v1, 3, 0
	v_lshl_add_u32 v1, v2, 3, 0
	;; [unrolled: 1-line block ×4, first 2 shown]
	v_mad_u16 v4, 0x78, v60, v59
	ds_store_b64 v0, v[17:18]
	ds_store_b64 v1, v[21:22]
	;; [unrolled: 1-line block ×3, first 2 shown]
	s_wait_loadcnt 0xa
	ds_store_b64 v3, v[36:37]
	v_mad_u16 v1, 0x78, v62, v61
	v_mad_u16 v2, 0x78, v64, v63
	;; [unrolled: 1-line block ×3, first 2 shown]
	v_and_b32_e32 v0, 0xffff, v4
	v_mad_u16 v4, 0x78, v68, v67
	v_and_b32_e32 v1, 0xffff, v1
	v_and_b32_e32 v2, 0xffff, v2
	;; [unrolled: 1-line block ×3, first 2 shown]
	v_lshl_add_u32 v0, v0, 3, 0
	v_and_b32_e32 v4, 0xffff, v4
	s_wait_loadcnt 0x9
	ds_store_b64 v0, v[30:31]
	v_lshl_add_u32 v0, v1, 3, 0
	v_lshl_add_u32 v1, v2, 3, 0
	;; [unrolled: 1-line block ×4, first 2 shown]
	v_mad_u16 v4, 0x78, v70, v69
	s_wait_loadcnt 0x8
	ds_store_b64 v0, v[32:33]
	s_wait_loadcnt 0x7
	ds_store_b64 v1, v[34:35]
	;; [unrolled: 2-line block ×4, first 2 shown]
	v_and_b32_e32 v0, 0xffff, v4
	v_mad_u16 v1, 0x78, v72, v71
	v_mad_u16 v2, 0x78, v74, v73
	;; [unrolled: 1-line block ×4, first 2 shown]
	v_lshl_add_u32 v0, v0, 3, 0
	v_and_b32_e32 v1, 0xffff, v1
	v_and_b32_e32 v2, 0xffff, v2
	;; [unrolled: 1-line block ×4, first 2 shown]
	s_wait_loadcnt 0x4
	ds_store_b64 v0, v[46:47]
	v_lshl_add_u32 v0, v1, 3, 0
	v_lshl_add_u32 v1, v2, 3, 0
	;; [unrolled: 1-line block ×4, first 2 shown]
	v_mul_u32_u24_e32 v4, 0x3c0, v23
	s_wait_loadcnt 0x3
	ds_store_b64 v0, v[48:49]
	s_wait_loadcnt 0x2
	ds_store_b64 v1, v[38:39]
	;; [unrolled: 2-line block ×4, first 2 shown]
	v_add3_u32 v21, 0, v4, v5
	global_wb scope:SCOPE_SE
	s_wait_dscnt 0x0
	s_barrier_signal -1
	s_barrier_wait -1
	global_inv scope:SCOPE_SE
	ds_load_2addr_b64 v[25:28], v21 offset1:120
	v_add_nc_u32_e32 v0, 0x400, v21
	v_add_nc_u32_e32 v18, 0x2c00, v21
	v_add_nc_u32_e32 v10, 0x2400, v21
	v_add_nc_u32_e32 v34, 0x3400, v21
	ds_load_2addr_b64 v[29:32], v0 offset0:112 offset1:232
	v_add_nc_u32_e32 v0, 0xc00, v21
	ds_load_2addr_b64 v[12:15], v0 offset0:96 offset1:216
	v_add_nc_u32_e32 v0, 0x1400, v21
	ds_load_2addr_b64 v[4:7], v0 offset0:80 offset1:200
	s_wait_dscnt 0x3
	v_dual_add_f32 v1, v25, v27 :: v_dual_add_f32 v2, v26, v28
	s_wait_dscnt 0x2
	s_delay_alu instid0(VALU_DEP_1) | instskip(NEXT) | instid1(VALU_DEP_1)
	v_dual_add_f32 v0, v1, v29 :: v_dual_add_f32 v1, v2, v30
	v_dual_add_f32 v8, v0, v31 :: v_dual_add_f32 v9, v1, v32
	s_wait_dscnt 0x1
	s_delay_alu instid0(VALU_DEP_1) | instskip(NEXT) | instid1(VALU_DEP_1)
	v_dual_add_f32 v8, v8, v12 :: v_dual_add_f32 v9, v9, v13
	v_dual_add_f32 v16, v8, v14 :: v_dual_add_f32 v17, v9, v15
	ds_load_2addr_b64 v[8:11], v10 offset0:48 offset1:168
	s_wait_dscnt 0x1
	v_dual_add_f32 v16, v16, v4 :: v_dual_add_f32 v17, v17, v5
	s_delay_alu instid0(VALU_DEP_1)
	v_dual_add_f32 v22, v16, v6 :: v_dual_add_f32 v33, v17, v7
	ds_load_2addr_b64 v[16:19], v18 offset0:32 offset1:152
	v_add_nc_u32_e32 v2, 0x1c00, v21
	ds_load_2addr_b64 v[0:3], v2 offset0:64 offset1:184
	s_wait_dscnt 0x0
	v_dual_add_f32 v33, v33, v1 :: v_dual_add_f32 v22, v22, v0
	s_delay_alu instid0(VALU_DEP_1) | instskip(SKIP_3) | instid1(VALU_DEP_1)
	v_dual_add_f32 v38, v33, v3 :: v_dual_add_f32 v37, v22, v2
	ds_load_b64 v[21:22], v21 offset:15360
	ds_load_2addr_b64 v[33:36], v34 offset0:16 offset1:136
	v_dual_add_f32 v38, v38, v9 :: v_dual_add_f32 v37, v37, v8
	v_dual_add_f32 v38, v38, v11 :: v_dual_add_f32 v37, v37, v10
	s_delay_alu instid0(VALU_DEP_1) | instskip(NEXT) | instid1(VALU_DEP_1)
	v_dual_add_f32 v38, v38, v17 :: v_dual_add_f32 v37, v37, v16
	v_dual_add_f32 v38, v38, v19 :: v_dual_add_f32 v37, v37, v18
	s_wait_dscnt 0x1
	v_dual_sub_f32 v39, v28, v22 :: v_dual_add_f32 v40, v21, v27
	v_add_f32_e32 v28, v22, v28
	s_wait_dscnt 0x0
	v_dual_add_f32 v38, v38, v34 :: v_dual_add_f32 v37, v37, v33
	v_sub_f32_e32 v27, v27, v21
	v_add_f32_e32 v70, v35, v29
	s_delay_alu instid0(VALU_DEP_3) | instskip(NEXT) | instid1(VALU_DEP_4)
	v_dual_add_f32 v38, v38, v36 :: v_dual_mul_f32 v41, 0xbeb8f4ab, v39
	v_add_f32_e32 v37, v37, v35
	s_delay_alu instid0(VALU_DEP_2) | instskip(NEXT) | instid1(VALU_DEP_3)
	v_dual_mul_f32 v43, 0xbeb8f4ab, v27 :: v_dual_add_f32 v22, v38, v22
	v_fma_f32 v42, 0x3f6eb680, v40, -v41
	s_delay_alu instid0(VALU_DEP_2) | instskip(NEXT) | instid1(VALU_DEP_2)
	v_dual_add_f32 v21, v37, v21 :: v_dual_fmamk_f32 v38, v28, 0x3f6eb680, v43
	v_dual_mul_f32 v44, 0xbf2c7751, v27 :: v_dual_add_f32 v37, v25, v42
	v_mul_f32_e32 v42, 0xbf2c7751, v39
	s_delay_alu instid0(VALU_DEP_3) | instskip(SKIP_1) | instid1(VALU_DEP_4)
	v_add_f32_e32 v38, v26, v38
	v_fma_f32 v43, 0x3f6eb680, v28, -v43
	v_fmamk_f32 v46, v28, 0x3f3d2fb0, v44
	v_fmac_f32_e32 v41, 0x3f6eb680, v40
	v_fma_f32 v45, 0x3f3d2fb0, v40, -v42
	s_delay_alu instid0(VALU_DEP_4) | instskip(NEXT) | instid1(VALU_DEP_4)
	v_dual_fmac_f32 v42, 0x3f3d2fb0, v40 :: v_dual_add_f32 v43, v26, v43
	v_dual_mul_f32 v47, 0xbf65296c, v39 :: v_dual_add_f32 v46, v26, v46
	s_delay_alu instid0(VALU_DEP_3) | instskip(SKIP_4) | instid1(VALU_DEP_3)
	v_add_f32_e32 v45, v25, v45
	v_add_f32_e32 v41, v25, v41
	v_fma_f32 v44, 0x3f3d2fb0, v28, -v44
	v_dual_mul_f32 v49, 0xbf65296c, v27 :: v_dual_add_f32 v42, v25, v42
	v_fma_f32 v48, 0x3ee437d1, v40, -v47
	v_dual_sub_f32 v29, v29, v35 :: v_dual_add_f32 v44, v26, v44
	s_delay_alu instid0(VALU_DEP_3) | instskip(SKIP_4) | instid1(VALU_DEP_4)
	v_fmamk_f32 v51, v28, 0x3ee437d1, v49
	v_fma_f32 v49, 0x3ee437d1, v28, -v49
	v_mul_f32_e32 v50, 0xbf7ee86f, v39
	v_add_f32_e32 v48, v25, v48
	v_sub_f32_e32 v69, v30, v36
	v_add_f32_e32 v49, v26, v49
	s_delay_alu instid0(VALU_DEP_4) | instskip(SKIP_2) | instid1(VALU_DEP_3)
	v_fma_f32 v52, 0x3dbcf732, v40, -v50
	v_mul_f32_e32 v53, 0xbf7ee86f, v27
	v_fmac_f32_e32 v50, 0x3dbcf732, v40
	v_dual_mul_f32 v55, 0xbf763a35, v39 :: v_dual_add_f32 v52, v25, v52
	s_delay_alu instid0(VALU_DEP_3) | instskip(SKIP_4) | instid1(VALU_DEP_4)
	v_dual_add_f32 v51, v26, v51 :: v_dual_fmamk_f32 v54, v28, 0x3dbcf732, v53
	v_fmac_f32_e32 v47, 0x3ee437d1, v40
	v_fma_f32 v53, 0x3dbcf732, v28, -v53
	v_mul_f32_e32 v56, 0xbf763a35, v27
	v_add_f32_e32 v50, v25, v50
	v_dual_add_f32 v54, v26, v54 :: v_dual_add_f32 v47, v25, v47
	v_fma_f32 v57, 0xbe8c1d8e, v40, -v55
	s_delay_alu instid0(VALU_DEP_4) | instskip(SKIP_2) | instid1(VALU_DEP_4)
	v_dual_add_f32 v53, v26, v53 :: v_dual_fmamk_f32 v58, v28, 0xbe8c1d8e, v56
	v_fma_f32 v56, 0xbe8c1d8e, v28, -v56
	v_mul_f32_e32 v61, 0xbf4c4adb, v27
	v_add_f32_e32 v57, v25, v57
	s_delay_alu instid0(VALU_DEP_4) | instskip(NEXT) | instid1(VALU_DEP_3)
	v_dual_mul_f32 v59, 0xbf4c4adb, v39 :: v_dual_add_f32 v58, v26, v58
	v_dual_add_f32 v56, v26, v56 :: v_dual_fmamk_f32 v63, v28, 0xbf1a4643, v61
	v_fma_f32 v61, 0xbf1a4643, v28, -v61
	s_delay_alu instid0(VALU_DEP_3) | instskip(NEXT) | instid1(VALU_DEP_2)
	v_fma_f32 v60, 0xbf1a4643, v40, -v59
	v_dual_mul_f32 v62, 0xbf06c442, v39 :: v_dual_add_f32 v61, v26, v61
	s_delay_alu instid0(VALU_DEP_2) | instskip(NEXT) | instid1(VALU_DEP_2)
	v_add_f32_e32 v60, v25, v60
	v_fma_f32 v64, 0xbf59a7d5, v40, -v62
	v_mul_f32_e32 v65, 0xbf06c442, v27
	v_mul_f32_e32 v27, 0xbe3c28d5, v27
	v_fmac_f32_e32 v62, 0xbf59a7d5, v40
	v_fmac_f32_e32 v59, 0xbf1a4643, v40
	v_dual_add_f32 v64, v25, v64 :: v_dual_add_f32 v63, v26, v63
	v_fmamk_f32 v66, v28, 0xbf59a7d5, v65
	v_fmac_f32_e32 v55, 0xbe8c1d8e, v40
	v_fma_f32 v65, 0xbf59a7d5, v28, -v65
	v_fmamk_f32 v68, v28, 0xbf7ba420, v27
	s_delay_alu instid0(VALU_DEP_4) | instskip(NEXT) | instid1(VALU_DEP_4)
	v_dual_mul_f32 v39, 0xbe3c28d5, v39 :: v_dual_add_f32 v66, v26, v66
	v_add_f32_e32 v55, v25, v55
	v_add_f32_e32 v62, v25, v62
	;; [unrolled: 1-line block ×4, first 2 shown]
	v_fma_f32 v27, 0xbf7ba420, v28, -v27
	v_add_f32_e32 v28, v36, v30
	v_mul_f32_e32 v30, 0xbf2c7751, v29
	v_dual_mul_f32 v35, 0xbf2c7751, v69 :: v_dual_add_f32 v68, v26, v68
	s_delay_alu instid0(VALU_DEP_4) | instskip(SKIP_2) | instid1(VALU_DEP_4)
	v_add_f32_e32 v26, v26, v27
	v_fma_f32 v67, 0xbf7ba420, v40, -v39
	v_fmac_f32_e32 v39, 0xbf7ba420, v40
	v_fma_f32 v36, 0x3f3d2fb0, v70, -v35
	v_mul_f32_e32 v27, 0xbf7ee86f, v69
	s_delay_alu instid0(VALU_DEP_4) | instskip(NEXT) | instid1(VALU_DEP_4)
	v_dual_mul_f32 v40, 0xbf4c4adb, v69 :: v_dual_add_f32 v67, v25, v67
	v_add_f32_e32 v25, v25, v39
	v_fmamk_f32 v39, v28, 0x3f3d2fb0, v30
	v_add_f32_e32 v36, v36, v37
	v_fma_f32 v37, 0x3dbcf732, v70, -v27
	v_fma_f32 v30, 0x3f3d2fb0, v28, -v30
	s_delay_alu instid0(VALU_DEP_4) | instskip(NEXT) | instid1(VALU_DEP_3)
	v_dual_add_f32 v38, v39, v38 :: v_dual_mul_f32 v39, 0xbf7ee86f, v29
	v_add_f32_e32 v37, v37, v45
	v_fma_f32 v45, 0xbf1a4643, v70, -v40
	v_fmac_f32_e32 v40, 0xbf1a4643, v70
	v_dual_fmac_f32 v35, 0x3f3d2fb0, v70 :: v_dual_add_f32 v30, v30, v43
	s_delay_alu instid0(VALU_DEP_2) | instskip(NEXT) | instid1(VALU_DEP_2)
	v_dual_mul_f32 v43, 0xbf4c4adb, v29 :: v_dual_add_f32 v40, v40, v47
	v_add_f32_e32 v35, v35, v41
	v_fmamk_f32 v41, v28, 0x3dbcf732, v39
	v_fma_f32 v39, 0x3dbcf732, v28, -v39
	v_mul_f32_e32 v47, 0x3f06c442, v69
	s_delay_alu instid0(VALU_DEP_3) | instskip(NEXT) | instid1(VALU_DEP_3)
	v_dual_add_f32 v41, v41, v46 :: v_dual_mul_f32 v46, 0xbe3c28d5, v29
	v_add_f32_e32 v39, v39, v44
	v_dual_add_f32 v44, v45, v48 :: v_dual_fmac_f32 v27, 0x3dbcf732, v70
	v_mul_f32_e32 v45, 0xbe3c28d5, v69
	s_delay_alu instid0(VALU_DEP_2) | instskip(SKIP_1) | instid1(VALU_DEP_3)
	v_dual_add_f32 v27, v27, v42 :: v_dual_fmamk_f32 v42, v28, 0xbf1a4643, v43
	v_fma_f32 v43, 0xbf1a4643, v28, -v43
	v_fma_f32 v48, 0xbf7ba420, v70, -v45
	s_delay_alu instid0(VALU_DEP_2) | instskip(SKIP_1) | instid1(VALU_DEP_3)
	v_dual_add_f32 v42, v42, v51 :: v_dual_add_f32 v43, v43, v49
	v_fmamk_f32 v49, v28, 0xbf7ba420, v46
	v_add_f32_e32 v48, v48, v52
	v_fma_f32 v46, 0xbf7ba420, v28, -v46
	v_mul_f32_e32 v52, 0x3f06c442, v29
	v_fma_f32 v51, 0xbf59a7d5, v70, -v47
	v_add_f32_e32 v49, v49, v54
	s_delay_alu instid0(VALU_DEP_4) | instskip(SKIP_3) | instid1(VALU_DEP_4)
	v_dual_fmac_f32 v47, 0xbf59a7d5, v70 :: v_dual_add_f32 v46, v46, v53
	v_mul_f32_e32 v54, 0x3f763a35, v29
	v_fmamk_f32 v53, v28, 0xbf59a7d5, v52
	v_fma_f32 v52, 0xbf59a7d5, v28, -v52
	v_add_f32_e32 v47, v47, v55
	s_delay_alu instid0(VALU_DEP_4) | instskip(NEXT) | instid1(VALU_DEP_4)
	v_fmamk_f32 v55, v28, 0xbe8c1d8e, v54
	v_add_f32_e32 v53, v53, v58
	v_fma_f32 v54, 0xbe8c1d8e, v28, -v54
	v_mul_f32_e32 v58, 0x3f65296c, v29
	v_dual_mul_f32 v29, 0x3eb8f4ab, v29 :: v_dual_add_f32 v52, v52, v56
	s_delay_alu instid0(VALU_DEP_2) | instskip(SKIP_1) | instid1(VALU_DEP_1)
	v_dual_add_f32 v54, v54, v61 :: v_dual_fmamk_f32 v61, v28, 0x3ee437d1, v58
	v_fma_f32 v58, 0x3ee437d1, v28, -v58
	v_dual_fmac_f32 v45, 0xbf7ba420, v70 :: v_dual_add_f32 v58, v58, v65
	s_delay_alu instid0(VALU_DEP_1) | instskip(SKIP_3) | instid1(VALU_DEP_3)
	v_dual_add_f32 v45, v45, v50 :: v_dual_add_f32 v50, v51, v57
	v_mul_f32_e32 v51, 0x3f763a35, v69
	v_sub_f32_e32 v65, v31, v33
	v_add_f32_e32 v31, v33, v31
	v_fma_f32 v57, 0xbe8c1d8e, v70, -v51
	s_delay_alu instid0(VALU_DEP_1) | instskip(SKIP_1) | instid1(VALU_DEP_2)
	v_dual_fmac_f32 v51, 0xbe8c1d8e, v70 :: v_dual_add_f32 v56, v57, v60
	v_mul_f32_e32 v57, 0x3f65296c, v69
	v_add_f32_e32 v51, v51, v59
	v_mul_f32_e32 v59, 0x3eb8f4ab, v69
	s_delay_alu instid0(VALU_DEP_3) | instskip(NEXT) | instid1(VALU_DEP_1)
	v_fma_f32 v60, 0x3ee437d1, v70, -v57
	v_add_f32_e32 v60, v60, v64
	v_fmamk_f32 v64, v28, 0x3f6eb680, v29
	v_fmac_f32_e32 v57, 0x3ee437d1, v70
	v_fma_f32 v28, 0x3f6eb680, v28, -v29
	v_add_f32_e32 v29, v34, v32
	v_add_f32_e32 v55, v55, v63
	v_fma_f32 v63, 0x3f6eb680, v70, -v59
	v_add_f32_e32 v57, v57, v62
	v_add_f32_e32 v26, v28, v26
	s_delay_alu instid0(VALU_DEP_3) | instskip(SKIP_2) | instid1(VALU_DEP_3)
	v_dual_add_f32 v62, v63, v67 :: v_dual_sub_f32 v63, v32, v34
	v_mul_f32_e32 v32, 0xbf65296c, v65
	v_dual_add_f32 v34, v64, v68 :: v_dual_add_f32 v61, v61, v66
	v_mul_f32_e32 v33, 0xbf65296c, v63
	s_delay_alu instid0(VALU_DEP_3) | instskip(SKIP_1) | instid1(VALU_DEP_3)
	v_fmamk_f32 v28, v29, 0x3ee437d1, v32
	v_fma_f32 v32, 0x3ee437d1, v29, -v32
	v_fma_f32 v64, 0x3ee437d1, v31, -v33
	s_delay_alu instid0(VALU_DEP_2) | instskip(SKIP_2) | instid1(VALU_DEP_4)
	v_dual_fmac_f32 v33, 0x3ee437d1, v31 :: v_dual_add_f32 v30, v32, v30
	v_fmac_f32_e32 v59, 0x3f6eb680, v70
	v_add_f32_e32 v28, v28, v38
	v_add_f32_e32 v36, v64, v36
	v_mul_f32_e32 v64, 0xbf4c4adb, v65
	s_delay_alu instid0(VALU_DEP_4) | instskip(SKIP_2) | instid1(VALU_DEP_2)
	v_dual_mul_f32 v32, 0x3e3c28d5, v63 :: v_dual_add_f32 v25, v59, v25
	v_mul_f32_e32 v59, 0xbf4c4adb, v63
	v_add_f32_e32 v33, v33, v35
	v_fma_f32 v38, 0xbf1a4643, v31, -v59
	s_delay_alu instid0(VALU_DEP_1) | instskip(SKIP_4) | instid1(VALU_DEP_2)
	v_add_f32_e32 v35, v38, v37
	v_fmamk_f32 v37, v29, 0xbf1a4643, v64
	v_fma_f32 v38, 0xbf1a4643, v29, -v64
	v_fma_f32 v64, 0xbf7ba420, v31, -v32
	v_fmac_f32_e32 v32, 0xbf7ba420, v31
	v_dual_add_f32 v38, v38, v39 :: v_dual_add_f32 v39, v64, v44
	v_mul_f32_e32 v44, 0x3f763a35, v63
	v_mul_f32_e32 v66, 0x3e3c28d5, v65
	;; [unrolled: 1-line block ×3, first 2 shown]
	v_fmac_f32_e32 v59, 0xbf1a4643, v31
	v_dual_add_f32 v37, v37, v41 :: v_dual_add_f32 v32, v32, v40
	s_delay_alu instid0(VALU_DEP_4) | instskip(NEXT) | instid1(VALU_DEP_3)
	v_fmamk_f32 v41, v29, 0xbf7ba420, v66
	v_add_f32_e32 v27, v59, v27
	s_delay_alu instid0(VALU_DEP_2) | instskip(SKIP_4) | instid1(VALU_DEP_4)
	v_add_f32_e32 v41, v41, v42
	v_fma_f32 v42, 0xbe8c1d8e, v31, -v44
	v_fmac_f32_e32 v44, 0xbe8c1d8e, v31
	v_fma_f32 v59, 0xbf7ba420, v29, -v66
	v_mul_f32_e32 v66, 0xbeb8f4ab, v65
	v_add_f32_e32 v42, v42, v48
	v_fma_f32 v48, 0xbe8c1d8e, v29, -v64
	s_delay_alu instid0(VALU_DEP_4) | instskip(SKIP_2) | instid1(VALU_DEP_4)
	v_dual_add_f32 v40, v59, v43 :: v_dual_fmamk_f32 v43, v29, 0xbe8c1d8e, v64
	v_dual_mul_f32 v59, 0x3f2c7751, v63 :: v_dual_mul_f32 v64, 0x3f2c7751, v65
	v_add_f32_e32 v44, v44, v45
	v_add_f32_e32 v45, v48, v46
	s_delay_alu instid0(VALU_DEP_4) | instskip(NEXT) | instid1(VALU_DEP_4)
	v_add_f32_e32 v43, v43, v49
	v_fma_f32 v49, 0x3f3d2fb0, v31, -v59
	v_mul_f32_e32 v46, 0xbeb8f4ab, v63
	s_delay_alu instid0(VALU_DEP_2) | instskip(SKIP_2) | instid1(VALU_DEP_4)
	v_add_f32_e32 v48, v49, v50
	v_fmamk_f32 v49, v29, 0x3f3d2fb0, v64
	v_fma_f32 v50, 0x3f3d2fb0, v29, -v64
	v_fma_f32 v64, 0x3f6eb680, v31, -v46
	v_fmac_f32_e32 v46, 0x3f6eb680, v31
	v_fmac_f32_e32 v59, 0x3f3d2fb0, v31
	s_delay_alu instid0(VALU_DEP_4) | instskip(NEXT) | instid1(VALU_DEP_4)
	v_dual_add_f32 v49, v49, v53 :: v_dual_add_f32 v50, v50, v52
	v_add_f32_e32 v52, v64, v56
	v_mul_f32_e32 v56, 0xbf7ee86f, v63
	v_fmamk_f32 v53, v29, 0x3f6eb680, v66
	v_fma_f32 v64, 0x3f6eb680, v29, -v66
	v_add_f32_e32 v46, v46, v51
	s_delay_alu instid0(VALU_DEP_3) | instskip(SKIP_3) | instid1(VALU_DEP_2)
	v_add_f32_e32 v53, v53, v55
	v_fma_f32 v55, 0x3dbcf732, v31, -v56
	v_fmac_f32_e32 v56, 0x3dbcf732, v31
	v_add_f32_e32 v54, v64, v54
	v_dual_add_f32 v56, v56, v57 :: v_dual_sub_f32 v57, v13, v19
	v_add_f32_e32 v47, v59, v47
	v_mul_f32_e32 v59, 0xbf7ee86f, v65
	v_add_f32_e32 v13, v19, v13
	s_delay_alu instid0(VALU_DEP_4) | instskip(SKIP_1) | instid1(VALU_DEP_4)
	v_dual_add_f32 v55, v55, v60 :: v_dual_mul_f32 v64, 0xbf7ee86f, v57
	v_mul_f32_e32 v63, 0xbf06c442, v63
	v_fmamk_f32 v51, v29, 0x3dbcf732, v59
	v_fma_f32 v59, 0x3dbcf732, v29, -v59
	s_delay_alu instid0(VALU_DEP_3) | instskip(NEXT) | instid1(VALU_DEP_2)
	v_fma_f32 v60, 0xbf59a7d5, v31, -v63
	v_add_f32_e32 v58, v59, v58
	s_delay_alu instid0(VALU_DEP_2) | instskip(SKIP_2) | instid1(VALU_DEP_3)
	v_dual_add_f32 v59, v60, v62 :: v_dual_add_f32 v62, v18, v12
	v_add_f32_e32 v51, v51, v61
	v_dual_mul_f32 v61, 0xbf06c442, v65 :: v_dual_sub_f32 v12, v12, v18
	v_fma_f32 v19, 0x3dbcf732, v62, -v64
	v_fmac_f32_e32 v64, 0x3dbcf732, v62
	s_delay_alu instid0(VALU_DEP_3) | instskip(SKIP_4) | instid1(VALU_DEP_4)
	v_fmamk_f32 v60, v29, 0xbf59a7d5, v61
	v_fma_f32 v18, 0xbf59a7d5, v29, -v61
	v_mul_f32_e32 v29, 0xbf7ee86f, v12
	v_add_f32_e32 v19, v19, v36
	v_dual_mul_f32 v36, 0xbe3c28d5, v12 :: v_dual_add_f32 v33, v64, v33
	v_add_f32_e32 v18, v18, v26
	s_delay_alu instid0(VALU_DEP_4) | instskip(SKIP_1) | instid1(VALU_DEP_2)
	v_fmamk_f32 v26, v13, 0x3dbcf732, v29
	v_fma_f32 v29, 0x3dbcf732, v13, -v29
	v_dual_fmac_f32 v63, 0xbf59a7d5, v31 :: v_dual_add_f32 v26, v26, v28
	s_delay_alu instid0(VALU_DEP_2) | instskip(SKIP_1) | instid1(VALU_DEP_1)
	v_add_f32_e32 v29, v29, v30
	v_fmamk_f32 v30, v13, 0xbf7ba420, v36
	v_dual_mul_f32 v61, 0x3eb8f4ab, v12 :: v_dual_add_f32 v30, v30, v37
	v_mul_f32_e32 v37, 0x3f763a35, v12
	v_dual_add_f32 v31, v60, v34 :: v_dual_mul_f32 v34, 0xbe3c28d5, v57
	v_mul_f32_e32 v60, 0x3f763a35, v57
	s_delay_alu instid0(VALU_DEP_2) | instskip(SKIP_1) | instid1(VALU_DEP_2)
	v_fma_f32 v28, 0xbf7ba420, v62, -v34
	v_fmac_f32_e32 v34, 0xbf7ba420, v62
	v_add_f32_e32 v28, v28, v35
	v_fma_f32 v35, 0xbf7ba420, v13, -v36
	v_fma_f32 v36, 0xbe8c1d8e, v62, -v60
	s_delay_alu instid0(VALU_DEP_4) | instskip(NEXT) | instid1(VALU_DEP_3)
	v_dual_fmac_f32 v60, 0xbe8c1d8e, v62 :: v_dual_add_f32 v27, v34, v27
	v_dual_add_f32 v34, v35, v38 :: v_dual_mul_f32 v35, 0x3eb8f4ab, v57
	s_delay_alu instid0(VALU_DEP_3) | instskip(NEXT) | instid1(VALU_DEP_3)
	v_add_f32_e32 v36, v36, v39
	v_add_f32_e32 v32, v60, v32
	v_mul_f32_e32 v60, 0xbf65296c, v12
	v_fmamk_f32 v38, v13, 0xbe8c1d8e, v37
	v_fma_f32 v39, 0x3f6eb680, v62, -v35
	v_fma_f32 v37, 0xbe8c1d8e, v13, -v37
	s_delay_alu instid0(VALU_DEP_3) | instskip(NEXT) | instid1(VALU_DEP_3)
	v_dual_fmac_f32 v35, 0x3f6eb680, v62 :: v_dual_add_f32 v38, v38, v41
	v_add_f32_e32 v39, v39, v42
	v_fma_f32 v42, 0x3f6eb680, v13, -v61
	s_delay_alu instid0(VALU_DEP_4) | instskip(SKIP_2) | instid1(VALU_DEP_4)
	v_add_f32_e32 v37, v37, v40
	v_fmamk_f32 v40, v13, 0x3f6eb680, v61
	v_mul_f32_e32 v41, 0xbf65296c, v57
	v_dual_mul_f32 v61, 0x3f4c4adb, v12 :: v_dual_add_f32 v42, v42, v45
	s_delay_alu instid0(VALU_DEP_3) | instskip(NEXT) | instid1(VALU_DEP_3)
	v_dual_add_f32 v25, v63, v25 :: v_dual_add_f32 v40, v40, v43
	v_fma_f32 v43, 0x3ee437d1, v62, -v41
	v_fmac_f32_e32 v41, 0x3ee437d1, v62
	v_mul_f32_e32 v45, 0xbf06c442, v57
	s_delay_alu instid0(VALU_DEP_3) | instskip(SKIP_1) | instid1(VALU_DEP_4)
	v_add_f32_e32 v43, v43, v48
	v_fma_f32 v48, 0x3ee437d1, v13, -v60
	v_add_f32_e32 v41, v41, v47
	s_delay_alu instid0(VALU_DEP_2) | instskip(SKIP_3) | instid1(VALU_DEP_3)
	v_dual_add_f32 v47, v48, v50 :: v_dual_mul_f32 v48, 0x3f4c4adb, v57
	v_dual_add_f32 v35, v35, v44 :: v_dual_fmamk_f32 v44, v13, 0x3ee437d1, v60
	v_mul_f32_e32 v60, 0xbf06c442, v12
	v_mul_f32_e32 v12, 0x3f2c7751, v12
	v_add_f32_e32 v44, v44, v49
	v_fma_f32 v49, 0xbf59a7d5, v62, -v45
	s_delay_alu instid0(VALU_DEP_4) | instskip(NEXT) | instid1(VALU_DEP_2)
	v_dual_fmamk_f32 v50, v13, 0xbf59a7d5, v60 :: v_dual_fmac_f32 v45, 0xbf59a7d5, v62
	v_add_f32_e32 v49, v49, v52
	v_fma_f32 v52, 0xbf59a7d5, v13, -v60
	v_fma_f32 v60, 0xbf1a4643, v62, -v48
	v_fmac_f32_e32 v48, 0xbf1a4643, v62
	v_dual_add_f32 v50, v50, v53 :: v_dual_fmamk_f32 v53, v13, 0xbf1a4643, v61
	s_delay_alu instid0(VALU_DEP_2)
	v_add_f32_e32 v48, v48, v56
	v_dual_sub_f32 v56, v15, v17 :: v_dual_add_f32 v45, v45, v46
	v_add_f32_e32 v46, v52, v54
	v_mul_f32_e32 v54, 0x3f2c7751, v57
	v_dual_fmamk_f32 v57, v13, 0x3f3d2fb0, v12 :: v_dual_add_f32 v52, v60, v55
	v_fma_f32 v55, 0xbf1a4643, v13, -v61
	v_fma_f32 v12, 0x3f3d2fb0, v13, -v12
	v_add_f32_e32 v13, v17, v15
	s_delay_alu instid0(VALU_DEP_4) | instskip(SKIP_4) | instid1(VALU_DEP_4)
	v_add_f32_e32 v31, v57, v31
	v_dual_add_f32 v57, v16, v14 :: v_dual_sub_f32 v14, v14, v16
	v_mul_f32_e32 v16, 0xbf763a35, v56
	v_add_f32_e32 v12, v12, v18
	v_mul_f32_e32 v18, 0x3f06c442, v56
	v_mul_f32_e32 v15, 0xbf763a35, v14
	s_delay_alu instid0(VALU_DEP_4) | instskip(SKIP_1) | instid1(VALU_DEP_2)
	v_fma_f32 v17, 0xbe8c1d8e, v57, -v16
	v_dual_add_f32 v55, v55, v58 :: v_dual_fmac_f32 v16, 0xbe8c1d8e, v57
	v_add_f32_e32 v17, v17, v19
	v_fma_f32 v19, 0xbf59a7d5, v57, -v18
	v_fmac_f32_e32 v18, 0xbf59a7d5, v57
	s_delay_alu instid0(VALU_DEP_2) | instskip(NEXT) | instid1(VALU_DEP_2)
	v_dual_add_f32 v16, v16, v33 :: v_dual_add_f32 v19, v19, v28
	v_add_f32_e32 v18, v18, v27
	v_add_f32_e32 v51, v53, v51
	v_fma_f32 v53, 0x3f3d2fb0, v62, -v54
	v_fmac_f32_e32 v54, 0x3f3d2fb0, v62
	s_delay_alu instid0(VALU_DEP_2) | instskip(NEXT) | instid1(VALU_DEP_2)
	v_dual_mul_f32 v28, 0x3f2c7751, v56 :: v_dual_add_f32 v53, v53, v59
	v_dual_add_f32 v25, v54, v25 :: v_dual_fmamk_f32 v54, v13, 0xbe8c1d8e, v15
	v_fma_f32 v15, 0xbe8c1d8e, v13, -v15
	s_delay_alu instid0(VALU_DEP_2) | instskip(NEXT) | instid1(VALU_DEP_2)
	v_add_f32_e32 v26, v54, v26
	v_dual_mul_f32 v54, 0x3f06c442, v14 :: v_dual_add_f32 v15, v15, v29
	s_delay_alu instid0(VALU_DEP_1) | instskip(SKIP_2) | instid1(VALU_DEP_3)
	v_fmamk_f32 v29, v13, 0xbf59a7d5, v54
	v_fma_f32 v33, 0xbf59a7d5, v13, -v54
	v_mul_f32_e32 v54, 0x3f2c7751, v14
	v_add_f32_e32 v29, v29, v30
	s_delay_alu instid0(VALU_DEP_2) | instskip(SKIP_3) | instid1(VALU_DEP_4)
	v_fmamk_f32 v30, v13, 0x3f3d2fb0, v54
	v_fma_f32 v58, 0x3f3d2fb0, v57, -v28
	v_dual_add_f32 v27, v33, v34 :: v_dual_mul_f32 v34, 0xbf65296c, v56
	v_fmac_f32_e32 v28, 0x3f3d2fb0, v57
	v_add_f32_e32 v30, v30, v38
	s_delay_alu instid0(VALU_DEP_4)
	v_add_f32_e32 v33, v58, v36
	v_fma_f32 v36, 0x3f3d2fb0, v13, -v54
	v_mul_f32_e32 v38, 0xbf65296c, v14
	v_fma_f32 v54, 0x3ee437d1, v57, -v34
	v_add_f32_e32 v28, v28, v32
	v_fmac_f32_e32 v34, 0x3ee437d1, v57
	v_add_f32_e32 v32, v36, v37
	s_delay_alu instid0(VALU_DEP_4) | instskip(NEXT) | instid1(VALU_DEP_3)
	v_dual_mul_f32 v36, 0xbe3c28d5, v56 :: v_dual_add_f32 v39, v54, v39
	v_add_f32_e32 v34, v34, v35
	s_delay_alu instid0(VALU_DEP_2) | instskip(SKIP_2) | instid1(VALU_DEP_1)
	v_fma_f32 v54, 0xbf7ba420, v57, -v36
	v_fmamk_f32 v37, v13, 0x3ee437d1, v38
	v_fma_f32 v38, 0x3ee437d1, v13, -v38
	v_dual_fmac_f32 v36, 0xbf7ba420, v57 :: v_dual_add_f32 v35, v38, v42
	s_delay_alu instid0(VALU_DEP_1) | instskip(NEXT) | instid1(VALU_DEP_4)
	v_add_f32_e32 v36, v36, v41
	v_dual_add_f32 v38, v54, v43 :: v_dual_add_f32 v37, v37, v40
	v_mul_f32_e32 v40, 0xbe3c28d5, v14
	v_mul_f32_e32 v42, 0x3f7ee86f, v56
	s_delay_alu instid0(VALU_DEP_2) | instskip(SKIP_1) | instid1(VALU_DEP_3)
	v_fmamk_f32 v43, v13, 0xbf7ba420, v40
	v_fma_f32 v40, 0xbf7ba420, v13, -v40
	v_fma_f32 v58, 0x3dbcf732, v57, -v42
	s_delay_alu instid0(VALU_DEP_2) | instskip(NEXT) | instid1(VALU_DEP_4)
	v_add_f32_e32 v40, v40, v47
	v_dual_mul_f32 v54, 0x3f7ee86f, v14 :: v_dual_add_f32 v43, v43, v44
	s_delay_alu instid0(VALU_DEP_3) | instskip(NEXT) | instid1(VALU_DEP_2)
	v_dual_mul_f32 v47, 0xbeb8f4ab, v56 :: v_dual_add_f32 v44, v58, v49
	v_fmamk_f32 v41, v13, 0x3dbcf732, v54
	v_fmac_f32_e32 v42, 0x3dbcf732, v57
	v_fma_f32 v49, 0x3dbcf732, v13, -v54
	s_delay_alu instid0(VALU_DEP_3) | instskip(SKIP_2) | instid1(VALU_DEP_4)
	v_add_f32_e32 v41, v41, v50
	v_mul_f32_e32 v50, 0xbeb8f4ab, v14
	v_fma_f32 v54, 0x3f6eb680, v57, -v47
	v_dual_add_f32 v42, v42, v45 :: v_dual_add_f32 v45, v49, v46
	s_delay_alu instid0(VALU_DEP_2) | instskip(SKIP_3) | instid1(VALU_DEP_4)
	v_dual_fmamk_f32 v49, v13, 0x3f6eb680, v50 :: v_dual_add_f32 v52, v54, v52
	v_mul_f32_e32 v46, 0xbf4c4adb, v56
	v_fma_f32 v50, 0x3f6eb680, v13, -v50
	v_fmac_f32_e32 v47, 0x3f6eb680, v57
	v_dual_add_f32 v49, v49, v51 :: v_dual_mul_f32 v14, 0xbf4c4adb, v14
	s_delay_alu instid0(VALU_DEP_4) | instskip(SKIP_1) | instid1(VALU_DEP_4)
	v_fma_f32 v54, 0xbf1a4643, v57, -v46
	v_sub_f32_e32 v51, v5, v11
	v_dual_add_f32 v47, v47, v48 :: v_dual_add_f32 v48, v50, v55
	v_add_f32_e32 v5, v11, v5
	s_delay_alu instid0(VALU_DEP_4) | instskip(SKIP_4) | instid1(VALU_DEP_4)
	v_dual_add_f32 v50, v54, v53 :: v_dual_fmamk_f32 v53, v13, 0xbf1a4643, v14
	v_sub_f32_e32 v54, v4, v10
	v_add_f32_e32 v4, v10, v4
	v_mul_f32_e32 v10, 0xbf4c4adb, v51
	v_fma_f32 v13, 0xbf1a4643, v13, -v14
	v_mul_f32_e32 v11, 0xbf4c4adb, v54
	v_fmac_f32_e32 v46, 0xbf1a4643, v57
	s_delay_alu instid0(VALU_DEP_3) | instskip(NEXT) | instid1(VALU_DEP_3)
	v_add_f32_e32 v12, v13, v12
	v_fmamk_f32 v13, v5, 0xbf1a4643, v11
	s_delay_alu instid0(VALU_DEP_3) | instskip(SKIP_1) | instid1(VALU_DEP_3)
	v_dual_add_f32 v14, v53, v31 :: v_dual_add_f32 v25, v46, v25
	v_fma_f32 v31, 0xbf1a4643, v4, -v10
	v_dual_mul_f32 v46, 0x3f763a35, v51 :: v_dual_add_f32 v13, v13, v26
	v_fma_f32 v11, 0xbf1a4643, v5, -v11
	s_delay_alu instid0(VALU_DEP_3) | instskip(NEXT) | instid1(VALU_DEP_3)
	v_dual_fmac_f32 v10, 0xbf1a4643, v4 :: v_dual_add_f32 v17, v31, v17
	v_fma_f32 v26, 0xbe8c1d8e, v4, -v46
	s_delay_alu instid0(VALU_DEP_3) | instskip(NEXT) | instid1(VALU_DEP_3)
	v_add_f32_e32 v11, v11, v15
	v_dual_mul_f32 v31, 0x3f763a35, v54 :: v_dual_add_f32 v10, v10, v16
	s_delay_alu instid0(VALU_DEP_1) | instskip(SKIP_3) | instid1(VALU_DEP_4)
	v_dual_add_f32 v16, v26, v19 :: v_dual_fmamk_f32 v19, v5, 0xbe8c1d8e, v31
	v_fmac_f32_e32 v46, 0xbe8c1d8e, v4
	v_fma_f32 v26, 0xbe8c1d8e, v5, -v31
	v_mul_f32_e32 v53, 0xbeb8f4ab, v54
	v_add_f32_e32 v19, v19, v29
	s_delay_alu instid0(VALU_DEP_4) | instskip(NEXT) | instid1(VALU_DEP_3)
	v_dual_mul_f32 v15, 0xbeb8f4ab, v51 :: v_dual_add_f32 v18, v46, v18
	v_dual_add_f32 v26, v26, v27 :: v_dual_fmamk_f32 v29, v5, 0x3f6eb680, v53
	v_mul_f32_e32 v46, 0xbf06c442, v54
	s_delay_alu instid0(VALU_DEP_3) | instskip(SKIP_1) | instid1(VALU_DEP_4)
	v_fma_f32 v31, 0x3f6eb680, v4, -v15
	v_fmac_f32_e32 v15, 0x3f6eb680, v4
	v_add_f32_e32 v29, v29, v30
	s_delay_alu instid0(VALU_DEP_3) | instskip(SKIP_3) | instid1(VALU_DEP_3)
	v_add_f32_e32 v27, v31, v33
	v_fma_f32 v33, 0x3f6eb680, v5, -v53
	v_mul_f32_e32 v31, 0xbf06c442, v51
	v_add_f32_e32 v15, v15, v28
	v_dual_mul_f32 v53, 0xbf2c7751, v54 :: v_dual_add_f32 v28, v33, v32
	s_delay_alu instid0(VALU_DEP_3) | instskip(SKIP_2) | instid1(VALU_DEP_3)
	v_fma_f32 v30, 0xbf59a7d5, v4, -v31
	v_fmamk_f32 v32, v5, 0xbf59a7d5, v46
	v_mul_f32_e32 v33, 0x3f7ee86f, v51
	v_add_f32_e32 v30, v30, v39
	v_fma_f32 v39, 0xbf59a7d5, v5, -v46
	v_mul_f32_e32 v46, 0x3f7ee86f, v54
	v_add_f32_e32 v32, v32, v37
	v_fma_f32 v37, 0x3dbcf732, v4, -v33
	v_fmac_f32_e32 v33, 0x3dbcf732, v4
	s_delay_alu instid0(VALU_DEP_2) | instskip(SKIP_2) | instid1(VALU_DEP_2)
	v_add_f32_e32 v37, v37, v38
	v_fmamk_f32 v38, v5, 0x3dbcf732, v46
	v_fmac_f32_e32 v31, 0xbf59a7d5, v4
	v_dual_add_f32 v33, v33, v36 :: v_dual_add_f32 v38, v38, v43
	s_delay_alu instid0(VALU_DEP_2) | instskip(SKIP_2) | instid1(VALU_DEP_1)
	v_add_f32_e32 v31, v31, v34
	v_add_f32_e32 v34, v39, v35
	v_fma_f32 v39, 0x3dbcf732, v5, -v46
	v_dual_mul_f32 v35, 0xbf2c7751, v51 :: v_dual_add_f32 v36, v39, v40
	s_delay_alu instid0(VALU_DEP_1) | instskip(SKIP_1) | instid1(VALU_DEP_2)
	v_fma_f32 v46, 0x3f3d2fb0, v4, -v35
	v_fmac_f32_e32 v35, 0x3f3d2fb0, v4
	v_dual_add_f32 v39, v46, v44 :: v_dual_mul_f32 v44, 0xbe3c28d5, v54
	s_delay_alu instid0(VALU_DEP_1) | instskip(SKIP_1) | instid1(VALU_DEP_2)
	v_dual_add_f32 v35, v35, v42 :: v_dual_fmamk_f32 v42, v5, 0xbf7ba420, v44
	v_fma_f32 v44, 0xbf7ba420, v5, -v44
	v_dual_mul_f32 v43, 0xbe3c28d5, v51 :: v_dual_add_f32 v42, v42, v49
	s_delay_alu instid0(VALU_DEP_2) | instskip(SKIP_1) | instid1(VALU_DEP_1)
	v_add_f32_e32 v44, v44, v48
	v_fma_f32 v46, 0x3f3d2fb0, v5, -v53
	v_dual_fmamk_f32 v40, v5, 0x3f3d2fb0, v53 :: v_dual_add_f32 v45, v46, v45
	v_dual_mul_f32 v46, 0x3f65296c, v51 :: v_dual_mul_f32 v51, 0x3f65296c, v54
	s_delay_alu instid0(VALU_DEP_2) | instskip(SKIP_1) | instid1(VALU_DEP_3)
	v_add_f32_e32 v40, v40, v41
	v_fma_f32 v41, 0xbf7ba420, v4, -v43
	v_fma_f32 v49, 0x3ee437d1, v4, -v46
	v_fmac_f32_e32 v46, 0x3ee437d1, v4
	s_delay_alu instid0(VALU_DEP_2) | instskip(SKIP_2) | instid1(VALU_DEP_3)
	v_dual_fmac_f32 v43, 0xbf7ba420, v4 :: v_dual_add_f32 v48, v49, v50
	v_add_f32_e32 v50, v8, v6
	v_dual_sub_f32 v6, v6, v8 :: v_dual_fmamk_f32 v49, v5, 0x3ee437d1, v51
	v_add_f32_e32 v43, v43, v47
	v_fma_f32 v4, 0x3ee437d1, v5, -v51
	s_delay_alu instid0(VALU_DEP_3) | instskip(NEXT) | instid1(VALU_DEP_2)
	v_dual_sub_f32 v47, v7, v9 :: v_dual_mul_f32 v8, 0xbf06c442, v6
	v_add_f32_e32 v4, v4, v12
	s_delay_alu instid0(VALU_DEP_2) | instskip(SKIP_1) | instid1(VALU_DEP_2)
	v_dual_add_f32 v41, v41, v52 :: v_dual_mul_f32 v52, 0xbf06c442, v47
	v_add_f32_e32 v5, v9, v7
	v_fma_f32 v7, 0xbf59a7d5, v50, -v52
	v_fmac_f32_e32 v52, 0xbf59a7d5, v50
	s_delay_alu instid0(VALU_DEP_3) | instskip(SKIP_1) | instid1(VALU_DEP_4)
	v_fmamk_f32 v12, v5, 0xbf59a7d5, v8
	v_dual_add_f32 v9, v49, v14 :: v_dual_add_f32 v14, v46, v25
	v_add_f32_e32 v7, v7, v17
	s_delay_alu instid0(VALU_DEP_4) | instskip(SKIP_2) | instid1(VALU_DEP_3)
	v_dual_mul_f32 v17, 0x3f65296c, v47 :: v_dual_add_f32 v10, v52, v10
	v_fma_f32 v8, 0xbf59a7d5, v5, -v8
	v_dual_mul_f32 v25, 0x3f65296c, v6 :: v_dual_add_f32 v12, v12, v13
	v_fma_f32 v13, 0x3ee437d1, v50, -v17
	v_mul_f32_e32 v46, 0xbf7ee86f, v47
	s_delay_alu instid0(VALU_DEP_2) | instskip(NEXT) | instid1(VALU_DEP_4)
	v_dual_add_f32 v8, v8, v11 :: v_dual_add_f32 v13, v13, v16
	v_fma_f32 v16, 0x3ee437d1, v5, -v25
	v_fmamk_f32 v11, v5, 0x3ee437d1, v25
	v_mul_f32_e32 v25, 0xbf7ee86f, v6
	s_delay_alu instid0(VALU_DEP_2) | instskip(NEXT) | instid1(VALU_DEP_2)
	v_dual_add_f32 v16, v16, v26 :: v_dual_add_f32 v11, v11, v19
	v_fmamk_f32 v26, v5, 0x3dbcf732, v25
	v_fmac_f32_e32 v17, 0x3ee437d1, v50
	v_fma_f32 v19, 0x3dbcf732, v50, -v46
	v_fma_f32 v25, 0x3dbcf732, v5, -v25
	v_fmac_f32_e32 v46, 0x3dbcf732, v50
	s_delay_alu instid0(VALU_DEP_4) | instskip(SKIP_4) | instid1(VALU_DEP_4)
	v_dual_add_f32 v26, v26, v29 :: v_dual_add_f32 v17, v17, v18
	v_mul_f32_e32 v18, 0x3f4c4adb, v47
	v_add_f32_e32 v19, v19, v27
	v_add_f32_e32 v25, v25, v28
	v_mul_f32_e32 v29, 0xbeb8f4ab, v47
	v_fma_f32 v27, 0xbf1a4643, v50, -v18
	v_fmac_f32_e32 v18, 0xbf1a4643, v50
	v_mul_f32_e32 v49, 0x3f4c4adb, v6
	s_delay_alu instid0(VALU_DEP_2) | instskip(NEXT) | instid1(VALU_DEP_2)
	v_dual_add_f32 v27, v27, v30 :: v_dual_add_f32 v18, v18, v31
	v_dual_add_f32 v15, v46, v15 :: v_dual_fmamk_f32 v28, v5, 0xbf1a4643, v49
	v_fma_f32 v30, 0xbf1a4643, v5, -v49
	v_mul_f32_e32 v46, 0xbeb8f4ab, v6
	s_delay_alu instid0(VALU_DEP_3) | instskip(SKIP_1) | instid1(VALU_DEP_3)
	v_add_f32_e32 v28, v28, v32
	v_fma_f32 v32, 0x3f6eb680, v50, -v29
	v_dual_add_f32 v30, v30, v34 :: v_dual_fmamk_f32 v31, v5, 0x3f6eb680, v46
	v_mul_f32_e32 v34, 0xbe3c28d5, v47
	s_delay_alu instid0(VALU_DEP_3) | instskip(SKIP_1) | instid1(VALU_DEP_4)
	v_dual_fmac_f32 v29, 0x3f6eb680, v50 :: v_dual_add_f32 v32, v32, v37
	v_fma_f32 v37, 0x3f6eb680, v5, -v46
	v_add_f32_e32 v31, v31, v38
	s_delay_alu instid0(VALU_DEP_4) | instskip(NEXT) | instid1(VALU_DEP_4)
	v_fma_f32 v38, 0xbf7ba420, v50, -v34
	v_dual_mul_f32 v46, 0xbe3c28d5, v6 :: v_dual_add_f32 v29, v29, v33
	s_delay_alu instid0(VALU_DEP_4) | instskip(SKIP_1) | instid1(VALU_DEP_3)
	v_dual_add_f32 v33, v37, v36 :: v_dual_fmac_f32 v34, 0xbf7ba420, v50
	v_mul_f32_e32 v36, 0x3f2c7751, v47
	v_dual_add_f32 v37, v38, v39 :: v_dual_fmamk_f32 v38, v5, 0xbf7ba420, v46
	v_fma_f32 v39, 0xbf7ba420, v5, -v46
	v_mul_f32_e32 v49, 0x3f2c7751, v6
	s_delay_alu instid0(VALU_DEP_4) | instskip(SKIP_1) | instid1(VALU_DEP_4)
	v_fma_f32 v46, 0x3f3d2fb0, v50, -v36
	v_add_f32_e32 v34, v34, v35
	v_dual_mul_f32 v6, 0xbf763a35, v6 :: v_dual_add_f32 v35, v39, v45
	v_add_f32_e32 v38, v38, v40
	s_delay_alu instid0(VALU_DEP_4)
	v_dual_add_f32 v39, v46, v41 :: v_dual_fmamk_f32 v40, v5, 0x3f3d2fb0, v49
	v_mul_f32_e32 v41, 0xbf763a35, v47
	v_fma_f32 v45, 0x3f3d2fb0, v5, -v49
	v_fmac_f32_e32 v36, 0x3f3d2fb0, v50
	v_dual_fmamk_f32 v46, v5, 0xbe8c1d8e, v6 :: v_dual_sub_f32 v47, v0, v2
	v_add_f32_e32 v40, v40, v42
	v_fma_f32 v42, 0xbe8c1d8e, v50, -v41
	s_delay_alu instid0(VALU_DEP_4)
	v_dual_add_f32 v36, v36, v43 :: v_dual_fmac_f32 v41, 0xbe8c1d8e, v50
	v_add_f32_e32 v43, v45, v44
	v_add_f32_e32 v45, v46, v9
	;; [unrolled: 1-line block ×3, first 2 shown]
	v_fma_f32 v0, 0xbe8c1d8e, v5, -v6
	v_add_f32_e32 v41, v41, v14
	v_sub_f32_e32 v44, v1, v3
	v_add_f32_e32 v42, v42, v48
	s_delay_alu instid0(VALU_DEP_4) | instskip(NEXT) | instid1(VALU_DEP_3)
	v_dual_add_f32 v48, v3, v1 :: v_dual_add_f32 v49, v0, v4
	v_dual_mul_f32 v1, 0xbe3c28d5, v47 :: v_dual_mul_f32 v2, 0xbe3c28d5, v44
	v_mul_f32_e32 v6, 0x3eb8f4ab, v44
	v_mul_f32_e32 v9, 0xbf06c442, v47
	;; [unrolled: 1-line block ×4, first 2 shown]
	v_fma_f32 v3, 0xbf7ba420, v46, -v2
	s_delay_alu instid0(VALU_DEP_1) | instskip(SKIP_4) | instid1(VALU_DEP_4)
	v_add_f32_e32 v0, v3, v7
	v_fma_f32 v3, 0xbf7ba420, v48, -v1
	v_fmamk_f32 v4, v48, 0xbf7ba420, v1
	v_mul_f32_e32 v7, 0x3eb8f4ab, v47
	v_fma_f32 v5, 0x3f6eb680, v46, -v6
	v_add_f32_e32 v3, v3, v8
	s_delay_alu instid0(VALU_DEP_4) | instskip(SKIP_1) | instid1(VALU_DEP_4)
	v_add_f32_e32 v1, v4, v12
	v_fma_f32 v12, 0xbf59a7d5, v48, -v9
	v_dual_add_f32 v4, v5, v13 :: v_dual_fmamk_f32 v5, v48, 0x3f6eb680, v7
	v_fma_f32 v7, 0x3f6eb680, v48, -v7
	v_fmac_f32_e32 v6, 0x3f6eb680, v46
	v_mul_f32_e32 v13, 0x3f2c7751, v47
	s_delay_alu instid0(VALU_DEP_4) | instskip(NEXT) | instid1(VALU_DEP_4)
	v_dual_add_f32 v5, v5, v11 :: v_dual_fmac_f32 v2, 0xbf7ba420, v46
	v_add_f32_e32 v7, v7, v16
	v_fmamk_f32 v11, v48, 0xbf59a7d5, v9
	v_fma_f32 v16, 0x3f3d2fb0, v46, -v14
	s_delay_alu instid0(VALU_DEP_4) | instskip(NEXT) | instid1(VALU_DEP_3)
	v_add_f32_e32 v2, v2, v10
	v_dual_mul_f32 v10, 0xbf06c442, v44 :: v_dual_add_f32 v9, v11, v26
	v_add_f32_e32 v11, v12, v25
	v_dual_add_f32 v6, v6, v17 :: v_dual_mul_f32 v25, 0xbf4c4adb, v47
	s_delay_alu instid0(VALU_DEP_3) | instskip(SKIP_1) | instid1(VALU_DEP_2)
	v_fma_f32 v8, 0xbf59a7d5, v46, -v10
	v_fmac_f32_e32 v10, 0xbf59a7d5, v46
	v_dual_add_f32 v8, v8, v19 :: v_dual_mul_f32 v19, 0xbf4c4adb, v44
	s_delay_alu instid0(VALU_DEP_2) | instskip(SKIP_2) | instid1(VALU_DEP_4)
	v_dual_add_f32 v10, v10, v15 :: v_dual_fmamk_f32 v15, v48, 0x3f3d2fb0, v13
	v_add_f32_e32 v12, v16, v27
	v_fma_f32 v16, 0x3f3d2fb0, v48, -v13
	v_fma_f32 v17, 0xbf1a4643, v46, -v19
	v_fmac_f32_e32 v19, 0xbf1a4643, v46
	v_add_f32_e32 v13, v15, v28
	s_delay_alu instid0(VALU_DEP_3) | instskip(SKIP_1) | instid1(VALU_DEP_1)
	v_dual_add_f32 v15, v16, v30 :: v_dual_add_f32 v16, v17, v32
	v_fmamk_f32 v17, v48, 0xbf1a4643, v25
	v_dual_fmac_f32 v14, 0x3f3d2fb0, v46 :: v_dual_add_f32 v17, v17, v31
	s_delay_alu instid0(VALU_DEP_1) | instskip(SKIP_3) | instid1(VALU_DEP_3)
	v_add_f32_e32 v14, v14, v18
	v_mul_f32_e32 v18, 0x3f65296c, v44
	v_fma_f32 v26, 0xbf1a4643, v48, -v25
	v_add_f32_e32 v25, v19, v29
	v_fma_f32 v27, 0x3ee437d1, v46, -v18
	v_mul_f32_e32 v30, 0x3f65296c, v47
	s_delay_alu instid0(VALU_DEP_4) | instskip(NEXT) | instid1(VALU_DEP_3)
	v_add_f32_e32 v26, v26, v33
	v_add_f32_e32 v27, v27, v37
	s_delay_alu instid0(VALU_DEP_3) | instskip(SKIP_1) | instid1(VALU_DEP_1)
	v_fmamk_f32 v19, v48, 0x3ee437d1, v30
	v_mul_f32_e32 v37, 0xbf763a35, v44
	v_fma_f32 v33, 0xbe8c1d8e, v46, -v37
	s_delay_alu instid0(VALU_DEP_3) | instskip(SKIP_4) | instid1(VALU_DEP_4)
	v_add_f32_e32 v28, v19, v38
	v_fma_f32 v19, 0x3ee437d1, v48, -v30
	v_fmac_f32_e32 v37, 0xbe8c1d8e, v46
	v_mad_co_u64_u32 v[29:30], null, s4, v24, 0
	v_add_f32_e32 v33, v33, v39
	v_add_f32_e32 v32, v19, v35
	s_delay_alu instid0(VALU_DEP_4) | instskip(SKIP_2) | instid1(VALU_DEP_3)
	v_dual_fmac_f32 v18, 0x3ee437d1, v46 :: v_dual_add_f32 v35, v37, v36
	v_fmamk_f32 v38, v48, 0xbe8c1d8e, v50
	v_mul_f32_e32 v39, 0x3f7ee86f, v47
	v_add_f32_e32 v31, v18, v34
	v_mov_b32_e32 v18, v30
	s_delay_alu instid0(VALU_DEP_4) | instskip(SKIP_4) | instid1(VALU_DEP_4)
	v_add_f32_e32 v34, v38, v40
	v_fma_f32 v30, 0xbe8c1d8e, v48, -v50
	v_mul_u32_u24_e32 v40, 17, v23
	v_mul_f32_e32 v38, 0x3f7ee86f, v44
	v_mad_co_u64_u32 v[18:19], null, s5, v24, v[18:19]
	v_dual_fmamk_f32 v19, v48, 0x3dbcf732, v39 :: v_dual_add_f32 v36, v30, v43
	s_delay_alu instid0(VALU_DEP_3) | instskip(SKIP_1) | instid1(VALU_DEP_2)
	v_fma_f32 v37, 0x3dbcf732, v46, -v38
	s_lshl_b64 s[4:5], s[8:9], 3
	v_add_f32_e32 v24, v19, v45
	s_delay_alu instid0(VALU_DEP_4)
	v_mov_b32_e32 v30, v18
	v_mul_lo_u32 v19, v40, s6
	v_add_f32_e32 v23, v37, v42
	v_fmac_f32_e32 v38, 0x3dbcf732, v46
	v_fma_f32 v18, 0x3dbcf732, v48, -v39
	v_lshlrev_b64_e32 v[29:30], 3, v[29:30]
	s_wait_alu 0xfffe
	s_add_nc_u64 s[0:1], s[4:5], s[0:1]
	s_wait_alu 0xfffe
	s_add_nc_u64 s[0:1], s[0:1], s[2:3]
	v_lshlrev_b64_e32 v[39:40], 3, v[19:20]
	v_add_nc_u32_e32 v19, s6, v19
	v_add_f32_e32 v37, v38, v41
	v_add_f32_e32 v38, v18, v49
	s_wait_alu 0xfffe
	v_add_co_u32 v18, vcc_lo, s0, v29
	s_wait_alu 0xfffd
	v_add_co_ci_u32_e32 v47, vcc_lo, s1, v30, vcc_lo
	v_lshlrev_b64_e32 v[29:30], 3, v[19:20]
	v_add_nc_u32_e32 v19, s6, v19
	v_add_co_u32 v39, vcc_lo, v18, v39
	s_wait_alu 0xfffd
	v_add_co_ci_u32_e32 v40, vcc_lo, v47, v40, vcc_lo
	s_delay_alu instid0(VALU_DEP_3) | instskip(SKIP_4) | instid1(VALU_DEP_3)
	v_lshlrev_b64_e32 v[41:42], 3, v[19:20]
	v_add_nc_u32_e32 v19, s6, v19
	v_add_co_u32 v29, vcc_lo, v18, v29
	s_wait_alu 0xfffd
	v_add_co_ci_u32_e32 v30, vcc_lo, v47, v30, vcc_lo
	v_lshlrev_b64_e32 v[43:44], 3, v[19:20]
	v_add_nc_u32_e32 v19, s6, v19
	v_add_co_u32 v41, vcc_lo, v18, v41
	s_wait_alu 0xfffd
	v_add_co_ci_u32_e32 v42, vcc_lo, v47, v42, vcc_lo
	s_delay_alu instid0(VALU_DEP_3)
	v_lshlrev_b64_e32 v[45:46], 3, v[19:20]
	v_add_nc_u32_e32 v19, s6, v19
	v_add_co_u32 v43, vcc_lo, v18, v43
	s_wait_alu 0xfffd
	v_add_co_ci_u32_e32 v44, vcc_lo, v47, v44, vcc_lo
	s_clause 0x3
	global_store_b64 v[39:40], v[21:22], off
	global_store_b64 v[29:30], v[0:1], off
	global_store_b64 v[41:42], v[4:5], off
	global_store_b64 v[43:44], v[8:9], off
	v_lshlrev_b64_e32 v[0:1], 3, v[19:20]
	v_add_nc_u32_e32 v19, s6, v19
	v_add_co_u32 v4, vcc_lo, v18, v45
	s_wait_alu 0xfffd
	v_add_co_ci_u32_e32 v5, vcc_lo, v47, v46, vcc_lo
	s_delay_alu instid0(VALU_DEP_3) | instskip(SKIP_4) | instid1(VALU_DEP_3)
	v_lshlrev_b64_e32 v[8:9], 3, v[19:20]
	v_add_nc_u32_e32 v19, s6, v19
	v_add_co_u32 v0, vcc_lo, v18, v0
	s_wait_alu 0xfffd
	v_add_co_ci_u32_e32 v1, vcc_lo, v47, v1, vcc_lo
	v_lshlrev_b64_e32 v[21:22], 3, v[19:20]
	v_add_nc_u32_e32 v19, s6, v19
	v_add_co_u32 v8, vcc_lo, v18, v8
	s_wait_alu 0xfffd
	v_add_co_ci_u32_e32 v9, vcc_lo, v47, v9, vcc_lo
	s_delay_alu instid0(VALU_DEP_3)
	v_lshlrev_b64_e32 v[29:30], 3, v[19:20]
	v_add_nc_u32_e32 v19, s6, v19
	v_add_co_u32 v21, vcc_lo, v18, v21
	s_wait_alu 0xfffd
	v_add_co_ci_u32_e32 v22, vcc_lo, v47, v22, vcc_lo
	s_clause 0x3
	global_store_b64 v[4:5], v[12:13], off
	global_store_b64 v[0:1], v[16:17], off
	global_store_b64 v[8:9], v[27:28], off
	global_store_b64 v[21:22], v[33:34], off
	;; [unrolled: 27-line block ×3, first 2 shown]
	v_lshlrev_b64_e32 v[0:1], 3, v[19:20]
	v_add_nc_u32_e32 v19, s6, v19
	v_add_co_u32 v4, vcc_lo, v18, v16
	s_wait_alu 0xfffd
	v_add_co_ci_u32_e32 v5, vcc_lo, v47, v17, vcc_lo
	s_delay_alu instid0(VALU_DEP_3) | instskip(SKIP_4) | instid1(VALU_DEP_3)
	v_lshlrev_b64_e32 v[8:9], 3, v[19:20]
	v_add_nc_u32_e32 v19, s6, v19
	v_add_co_u32 v0, vcc_lo, v18, v0
	s_wait_alu 0xfffd
	v_add_co_ci_u32_e32 v1, vcc_lo, v47, v1, vcc_lo
	v_lshlrev_b64_e32 v[12:13], 3, v[19:20]
	v_add_nc_u32_e32 v19, s6, v19
	v_add_co_u32 v8, vcc_lo, v18, v8
	s_wait_alu 0xfffd
	v_add_co_ci_u32_e32 v9, vcc_lo, v47, v9, vcc_lo
	s_delay_alu instid0(VALU_DEP_3) | instskip(SKIP_3) | instid1(VALU_DEP_3)
	v_lshlrev_b64_e32 v[16:17], 3, v[19:20]
	v_add_co_u32 v12, vcc_lo, v18, v12
	s_wait_alu 0xfffd
	v_add_co_ci_u32_e32 v13, vcc_lo, v47, v13, vcc_lo
	v_add_co_u32 v16, vcc_lo, v18, v16
	s_wait_alu 0xfffd
	v_add_co_ci_u32_e32 v17, vcc_lo, v47, v17, vcc_lo
	s_clause 0x4
	global_store_b64 v[4:5], v[25:26], off
	global_store_b64 v[0:1], v[14:15], off
	global_store_b64 v[8:9], v[10:11], off
	global_store_b64 v[12:13], v[6:7], off
	global_store_b64 v[16:17], v[2:3], off
	s_nop 0
	s_sendmsg sendmsg(MSG_DEALLOC_VGPRS)
	s_endpgm
	.section	.rodata,"a",@progbits
	.p2align	6, 0x0
	.amdhsa_kernel fft_rtc_fwd_len17_factors_17_wgs_120_tpt_1_sp_op_CI_CI_sbrc_xy_z_diag_dirReg
		.amdhsa_group_segment_fixed_size 0
		.amdhsa_private_segment_fixed_size 0
		.amdhsa_kernarg_size 104
		.amdhsa_user_sgpr_count 2
		.amdhsa_user_sgpr_dispatch_ptr 0
		.amdhsa_user_sgpr_queue_ptr 0
		.amdhsa_user_sgpr_kernarg_segment_ptr 1
		.amdhsa_user_sgpr_dispatch_id 0
		.amdhsa_user_sgpr_private_segment_size 0
		.amdhsa_wavefront_size32 1
		.amdhsa_uses_dynamic_stack 0
		.amdhsa_enable_private_segment 0
		.amdhsa_system_sgpr_workgroup_id_x 1
		.amdhsa_system_sgpr_workgroup_id_y 0
		.amdhsa_system_sgpr_workgroup_id_z 0
		.amdhsa_system_sgpr_workgroup_info 0
		.amdhsa_system_vgpr_workitem_id 0
		.amdhsa_next_free_vgpr 79
		.amdhsa_next_free_sgpr 22
		.amdhsa_reserve_vcc 1
		.amdhsa_float_round_mode_32 0
		.amdhsa_float_round_mode_16_64 0
		.amdhsa_float_denorm_mode_32 3
		.amdhsa_float_denorm_mode_16_64 3
		.amdhsa_fp16_overflow 0
		.amdhsa_workgroup_processor_mode 1
		.amdhsa_memory_ordered 1
		.amdhsa_forward_progress 0
		.amdhsa_round_robin_scheduling 0
		.amdhsa_exception_fp_ieee_invalid_op 0
		.amdhsa_exception_fp_denorm_src 0
		.amdhsa_exception_fp_ieee_div_zero 0
		.amdhsa_exception_fp_ieee_overflow 0
		.amdhsa_exception_fp_ieee_underflow 0
		.amdhsa_exception_fp_ieee_inexact 0
		.amdhsa_exception_int_div_zero 0
	.end_amdhsa_kernel
	.text
.Lfunc_end0:
	.size	fft_rtc_fwd_len17_factors_17_wgs_120_tpt_1_sp_op_CI_CI_sbrc_xy_z_diag_dirReg, .Lfunc_end0-fft_rtc_fwd_len17_factors_17_wgs_120_tpt_1_sp_op_CI_CI_sbrc_xy_z_diag_dirReg
                                        ; -- End function
	.section	.AMDGPU.csdata,"",@progbits
; Kernel info:
; codeLenInByte = 9840
; NumSgprs: 24
; NumVgprs: 79
; ScratchSize: 0
; MemoryBound: 0
; FloatMode: 240
; IeeeMode: 1
; LDSByteSize: 0 bytes/workgroup (compile time only)
; SGPRBlocks: 2
; VGPRBlocks: 9
; NumSGPRsForWavesPerEU: 24
; NumVGPRsForWavesPerEU: 79
; Occupancy: 16
; WaveLimiterHint : 1
; COMPUTE_PGM_RSRC2:SCRATCH_EN: 0
; COMPUTE_PGM_RSRC2:USER_SGPR: 2
; COMPUTE_PGM_RSRC2:TRAP_HANDLER: 0
; COMPUTE_PGM_RSRC2:TGID_X_EN: 1
; COMPUTE_PGM_RSRC2:TGID_Y_EN: 0
; COMPUTE_PGM_RSRC2:TGID_Z_EN: 0
; COMPUTE_PGM_RSRC2:TIDIG_COMP_CNT: 0
	.text
	.p2alignl 7, 3214868480
	.fill 96, 4, 3214868480
	.type	__hip_cuid_71750554427cce6b,@object ; @__hip_cuid_71750554427cce6b
	.section	.bss,"aw",@nobits
	.globl	__hip_cuid_71750554427cce6b
__hip_cuid_71750554427cce6b:
	.byte	0                               ; 0x0
	.size	__hip_cuid_71750554427cce6b, 1

	.ident	"AMD clang version 19.0.0git (https://github.com/RadeonOpenCompute/llvm-project roc-6.4.0 25133 c7fe45cf4b819c5991fe208aaa96edf142730f1d)"
	.section	".note.GNU-stack","",@progbits
	.addrsig
	.addrsig_sym __hip_cuid_71750554427cce6b
	.amdgpu_metadata
---
amdhsa.kernels:
  - .args:
      - .actual_access:  read_only
        .address_space:  global
        .offset:         0
        .size:           8
        .value_kind:     global_buffer
      - .offset:         8
        .size:           8
        .value_kind:     by_value
      - .actual_access:  read_only
        .address_space:  global
        .offset:         16
        .size:           8
        .value_kind:     global_buffer
      - .actual_access:  read_only
        .address_space:  global
        .offset:         24
        .size:           8
        .value_kind:     global_buffer
      - .actual_access:  read_only
        .address_space:  global
        .offset:         32
        .size:           8
        .value_kind:     global_buffer
      - .offset:         40
        .size:           8
        .value_kind:     by_value
      - .actual_access:  read_only
        .address_space:  global
        .offset:         48
        .size:           8
        .value_kind:     global_buffer
      - .actual_access:  read_only
        .address_space:  global
        .offset:         56
        .size:           8
        .value_kind:     global_buffer
      - .offset:         64
        .size:           4
        .value_kind:     by_value
      - .actual_access:  read_only
        .address_space:  global
        .offset:         72
        .size:           8
        .value_kind:     global_buffer
      - .actual_access:  read_only
        .address_space:  global
        .offset:         80
        .size:           8
        .value_kind:     global_buffer
      - .actual_access:  read_only
        .address_space:  global
        .offset:         88
        .size:           8
        .value_kind:     global_buffer
      - .actual_access:  write_only
        .address_space:  global
        .offset:         96
        .size:           8
        .value_kind:     global_buffer
    .group_segment_fixed_size: 0
    .kernarg_segment_align: 8
    .kernarg_segment_size: 104
    .language:       OpenCL C
    .language_version:
      - 2
      - 0
    .max_flat_workgroup_size: 120
    .name:           fft_rtc_fwd_len17_factors_17_wgs_120_tpt_1_sp_op_CI_CI_sbrc_xy_z_diag_dirReg
    .private_segment_fixed_size: 0
    .sgpr_count:     24
    .sgpr_spill_count: 0
    .symbol:         fft_rtc_fwd_len17_factors_17_wgs_120_tpt_1_sp_op_CI_CI_sbrc_xy_z_diag_dirReg.kd
    .uniform_work_group_size: 1
    .uses_dynamic_stack: false
    .vgpr_count:     79
    .vgpr_spill_count: 0
    .wavefront_size: 32
    .workgroup_processor_mode: 1
amdhsa.target:   amdgcn-amd-amdhsa--gfx1201
amdhsa.version:
  - 1
  - 2
...

	.end_amdgpu_metadata
